;; amdgpu-corpus repo=ROCm/rocFFT kind=compiled arch=gfx1201 opt=O3
	.text
	.amdgcn_target "amdgcn-amd-amdhsa--gfx1201"
	.amdhsa_code_object_version 6
	.protected	fft_rtc_back_len1625_factors_13_5_5_5_wgs_130_tpt_65_halfLds_half_op_CI_CI_sbrr_dirReg ; -- Begin function fft_rtc_back_len1625_factors_13_5_5_5_wgs_130_tpt_65_halfLds_half_op_CI_CI_sbrr_dirReg
	.globl	fft_rtc_back_len1625_factors_13_5_5_5_wgs_130_tpt_65_halfLds_half_op_CI_CI_sbrr_dirReg
	.p2align	8
	.type	fft_rtc_back_len1625_factors_13_5_5_5_wgs_130_tpt_65_halfLds_half_op_CI_CI_sbrr_dirReg,@function
fft_rtc_back_len1625_factors_13_5_5_5_wgs_130_tpt_65_halfLds_half_op_CI_CI_sbrr_dirReg: ; @fft_rtc_back_len1625_factors_13_5_5_5_wgs_130_tpt_65_halfLds_half_op_CI_CI_sbrr_dirReg
; %bb.0:
	s_clause 0x2
	s_load_b128 s[12:15], s[0:1], 0x18
	s_load_b128 s[8:11], s[0:1], 0x0
	;; [unrolled: 1-line block ×3, first 2 shown]
	v_mul_u32_u24_e32 v1, 0x3f1, v0
	v_mov_b32_e32 v3, 0
	s_wait_kmcnt 0x0
	s_load_b64 s[18:19], s[12:13], 0x0
	s_load_b64 s[16:17], s[14:15], 0x0
	v_lshrrev_b32_e32 v7, 16, v1
	v_cmp_lt_u64_e64 s2, s[10:11], 2
	v_mov_b32_e32 v1, 0
	v_mov_b32_e32 v2, 0
	;; [unrolled: 1-line block ×3, first 2 shown]
	v_lshl_add_u32 v5, ttmp9, 1, v7
	s_and_b32 vcc_lo, exec_lo, s2
	s_cbranch_vccnz .LBB0_8
; %bb.1:
	s_load_b64 s[2:3], s[0:1], 0x10
	v_mov_b32_e32 v1, 0
	v_mov_b32_e32 v2, 0
	s_add_nc_u64 s[20:21], s[14:15], 8
	s_add_nc_u64 s[22:23], s[12:13], 8
	s_mov_b64 s[24:25], 1
	s_delay_alu instid0(VALU_DEP_1)
	v_dual_mov_b32 v21, v2 :: v_dual_mov_b32 v20, v1
	s_wait_kmcnt 0x0
	s_add_nc_u64 s[26:27], s[2:3], 8
	s_mov_b32 s3, 0
.LBB0_2:                                ; =>This Inner Loop Header: Depth=1
	s_load_b64 s[28:29], s[26:27], 0x0
                                        ; implicit-def: $vgpr22_vgpr23
	s_mov_b32 s2, exec_lo
	s_wait_kmcnt 0x0
	v_or_b32_e32 v4, s29, v6
	s_delay_alu instid0(VALU_DEP_1)
	v_cmpx_ne_u64_e32 0, v[3:4]
	s_wait_alu 0xfffe
	s_xor_b32 s30, exec_lo, s2
	s_cbranch_execz .LBB0_4
; %bb.3:                                ;   in Loop: Header=BB0_2 Depth=1
	s_cvt_f32_u32 s2, s28
	s_cvt_f32_u32 s31, s29
	s_sub_nc_u64 s[36:37], 0, s[28:29]
	s_wait_alu 0xfffe
	s_delay_alu instid0(SALU_CYCLE_1) | instskip(SKIP_1) | instid1(SALU_CYCLE_2)
	s_fmamk_f32 s2, s31, 0x4f800000, s2
	s_wait_alu 0xfffe
	v_s_rcp_f32 s2, s2
	s_delay_alu instid0(TRANS32_DEP_1) | instskip(SKIP_1) | instid1(SALU_CYCLE_2)
	s_mul_f32 s2, s2, 0x5f7ffffc
	s_wait_alu 0xfffe
	s_mul_f32 s31, s2, 0x2f800000
	s_wait_alu 0xfffe
	s_delay_alu instid0(SALU_CYCLE_2) | instskip(SKIP_1) | instid1(SALU_CYCLE_2)
	s_trunc_f32 s31, s31
	s_wait_alu 0xfffe
	s_fmamk_f32 s2, s31, 0xcf800000, s2
	s_cvt_u32_f32 s35, s31
	s_wait_alu 0xfffe
	s_delay_alu instid0(SALU_CYCLE_1) | instskip(SKIP_1) | instid1(SALU_CYCLE_2)
	s_cvt_u32_f32 s34, s2
	s_wait_alu 0xfffe
	s_mul_u64 s[38:39], s[36:37], s[34:35]
	s_wait_alu 0xfffe
	s_mul_hi_u32 s41, s34, s39
	s_mul_i32 s40, s34, s39
	s_mul_hi_u32 s2, s34, s38
	s_mul_i32 s33, s35, s38
	s_wait_alu 0xfffe
	s_add_nc_u64 s[40:41], s[2:3], s[40:41]
	s_mul_hi_u32 s31, s35, s38
	s_mul_hi_u32 s42, s35, s39
	s_add_co_u32 s2, s40, s33
	s_wait_alu 0xfffe
	s_add_co_ci_u32 s2, s41, s31
	s_mul_i32 s38, s35, s39
	s_add_co_ci_u32 s39, s42, 0
	s_wait_alu 0xfffe
	s_add_nc_u64 s[38:39], s[2:3], s[38:39]
	s_wait_alu 0xfffe
	v_add_co_u32 v4, s2, s34, s38
	s_delay_alu instid0(VALU_DEP_1) | instskip(SKIP_1) | instid1(VALU_DEP_1)
	s_cmp_lg_u32 s2, 0
	s_add_co_ci_u32 s35, s35, s39
	v_readfirstlane_b32 s34, v4
	s_wait_alu 0xfffe
	s_delay_alu instid0(VALU_DEP_1)
	s_mul_u64 s[36:37], s[36:37], s[34:35]
	s_wait_alu 0xfffe
	s_mul_hi_u32 s39, s34, s37
	s_mul_i32 s38, s34, s37
	s_mul_hi_u32 s2, s34, s36
	s_mul_i32 s33, s35, s36
	s_wait_alu 0xfffe
	s_add_nc_u64 s[38:39], s[2:3], s[38:39]
	s_mul_hi_u32 s31, s35, s36
	s_mul_hi_u32 s34, s35, s37
	s_wait_alu 0xfffe
	s_add_co_u32 s2, s38, s33
	s_add_co_ci_u32 s2, s39, s31
	s_mul_i32 s36, s35, s37
	s_add_co_ci_u32 s37, s34, 0
	s_wait_alu 0xfffe
	s_add_nc_u64 s[36:37], s[2:3], s[36:37]
	s_wait_alu 0xfffe
	v_add_co_u32 v4, s2, v4, s36
	s_delay_alu instid0(VALU_DEP_1) | instskip(SKIP_1) | instid1(VALU_DEP_1)
	s_cmp_lg_u32 s2, 0
	s_add_co_ci_u32 s2, s35, s37
	v_mul_hi_u32 v14, v5, v4
	s_wait_alu 0xfffe
	v_mad_co_u64_u32 v[8:9], null, v5, s2, 0
	v_mad_co_u64_u32 v[10:11], null, v6, v4, 0
	;; [unrolled: 1-line block ×3, first 2 shown]
	s_delay_alu instid0(VALU_DEP_3) | instskip(SKIP_1) | instid1(VALU_DEP_4)
	v_add_co_u32 v4, vcc_lo, v14, v8
	s_wait_alu 0xfffd
	v_add_co_ci_u32_e32 v8, vcc_lo, 0, v9, vcc_lo
	s_delay_alu instid0(VALU_DEP_2) | instskip(SKIP_1) | instid1(VALU_DEP_2)
	v_add_co_u32 v4, vcc_lo, v4, v10
	s_wait_alu 0xfffd
	v_add_co_ci_u32_e32 v4, vcc_lo, v8, v11, vcc_lo
	s_wait_alu 0xfffd
	v_add_co_ci_u32_e32 v8, vcc_lo, 0, v13, vcc_lo
	s_delay_alu instid0(VALU_DEP_2) | instskip(SKIP_1) | instid1(VALU_DEP_2)
	v_add_co_u32 v4, vcc_lo, v4, v12
	s_wait_alu 0xfffd
	v_add_co_ci_u32_e32 v10, vcc_lo, 0, v8, vcc_lo
	s_delay_alu instid0(VALU_DEP_2) | instskip(SKIP_1) | instid1(VALU_DEP_3)
	v_mul_lo_u32 v11, s29, v4
	v_mad_co_u64_u32 v[8:9], null, s28, v4, 0
	v_mul_lo_u32 v12, s28, v10
	s_delay_alu instid0(VALU_DEP_2) | instskip(NEXT) | instid1(VALU_DEP_2)
	v_sub_co_u32 v8, vcc_lo, v5, v8
	v_add3_u32 v9, v9, v12, v11
	s_delay_alu instid0(VALU_DEP_1) | instskip(SKIP_1) | instid1(VALU_DEP_1)
	v_sub_nc_u32_e32 v11, v6, v9
	s_wait_alu 0xfffd
	v_subrev_co_ci_u32_e64 v11, s2, s29, v11, vcc_lo
	v_add_co_u32 v12, s2, v4, 2
	s_wait_alu 0xf1ff
	v_add_co_ci_u32_e64 v13, s2, 0, v10, s2
	v_sub_co_u32 v14, s2, v8, s28
	v_sub_co_ci_u32_e32 v9, vcc_lo, v6, v9, vcc_lo
	s_wait_alu 0xf1ff
	v_subrev_co_ci_u32_e64 v11, s2, 0, v11, s2
	s_delay_alu instid0(VALU_DEP_3) | instskip(NEXT) | instid1(VALU_DEP_3)
	v_cmp_le_u32_e32 vcc_lo, s28, v14
	v_cmp_eq_u32_e64 s2, s29, v9
	s_wait_alu 0xfffd
	v_cndmask_b32_e64 v14, 0, -1, vcc_lo
	v_cmp_le_u32_e32 vcc_lo, s29, v11
	s_wait_alu 0xfffd
	v_cndmask_b32_e64 v15, 0, -1, vcc_lo
	v_cmp_le_u32_e32 vcc_lo, s28, v8
	;; [unrolled: 3-line block ×3, first 2 shown]
	s_wait_alu 0xfffd
	v_cndmask_b32_e64 v16, 0, -1, vcc_lo
	v_cmp_eq_u32_e32 vcc_lo, s29, v11
	s_wait_alu 0xf1ff
	s_delay_alu instid0(VALU_DEP_2)
	v_cndmask_b32_e64 v8, v16, v8, s2
	s_wait_alu 0xfffd
	v_cndmask_b32_e32 v11, v15, v14, vcc_lo
	v_add_co_u32 v14, vcc_lo, v4, 1
	s_wait_alu 0xfffd
	v_add_co_ci_u32_e32 v15, vcc_lo, 0, v10, vcc_lo
	s_delay_alu instid0(VALU_DEP_3) | instskip(SKIP_2) | instid1(VALU_DEP_3)
	v_cmp_ne_u32_e32 vcc_lo, 0, v11
	s_wait_alu 0xfffd
	v_cndmask_b32_e32 v11, v14, v12, vcc_lo
	v_cndmask_b32_e32 v9, v15, v13, vcc_lo
	v_cmp_ne_u32_e32 vcc_lo, 0, v8
	s_wait_alu 0xfffd
	s_delay_alu instid0(VALU_DEP_2)
	v_dual_cndmask_b32 v22, v4, v11 :: v_dual_cndmask_b32 v23, v10, v9
.LBB0_4:                                ;   in Loop: Header=BB0_2 Depth=1
	s_wait_alu 0xfffe
	s_and_not1_saveexec_b32 s2, s30
	s_cbranch_execz .LBB0_6
; %bb.5:                                ;   in Loop: Header=BB0_2 Depth=1
	v_cvt_f32_u32_e32 v4, s28
	s_sub_co_i32 s30, 0, s28
	v_mov_b32_e32 v23, v3
	s_delay_alu instid0(VALU_DEP_2) | instskip(NEXT) | instid1(TRANS32_DEP_1)
	v_rcp_iflag_f32_e32 v4, v4
	v_mul_f32_e32 v4, 0x4f7ffffe, v4
	s_delay_alu instid0(VALU_DEP_1) | instskip(SKIP_1) | instid1(VALU_DEP_1)
	v_cvt_u32_f32_e32 v4, v4
	s_wait_alu 0xfffe
	v_mul_lo_u32 v8, s30, v4
	s_delay_alu instid0(VALU_DEP_1) | instskip(NEXT) | instid1(VALU_DEP_1)
	v_mul_hi_u32 v8, v4, v8
	v_add_nc_u32_e32 v4, v4, v8
	s_delay_alu instid0(VALU_DEP_1) | instskip(NEXT) | instid1(VALU_DEP_1)
	v_mul_hi_u32 v4, v5, v4
	v_mul_lo_u32 v8, v4, s28
	s_delay_alu instid0(VALU_DEP_1) | instskip(NEXT) | instid1(VALU_DEP_1)
	v_sub_nc_u32_e32 v8, v5, v8
	v_subrev_nc_u32_e32 v10, s28, v8
	v_cmp_le_u32_e32 vcc_lo, s28, v8
	s_wait_alu 0xfffd
	s_delay_alu instid0(VALU_DEP_2) | instskip(NEXT) | instid1(VALU_DEP_1)
	v_dual_cndmask_b32 v8, v8, v10 :: v_dual_add_nc_u32 v9, 1, v4
	v_cndmask_b32_e32 v4, v4, v9, vcc_lo
	s_delay_alu instid0(VALU_DEP_2) | instskip(NEXT) | instid1(VALU_DEP_2)
	v_cmp_le_u32_e32 vcc_lo, s28, v8
	v_add_nc_u32_e32 v9, 1, v4
	s_wait_alu 0xfffd
	s_delay_alu instid0(VALU_DEP_1)
	v_cndmask_b32_e32 v22, v4, v9, vcc_lo
.LBB0_6:                                ;   in Loop: Header=BB0_2 Depth=1
	s_wait_alu 0xfffe
	s_or_b32 exec_lo, exec_lo, s2
	v_mul_lo_u32 v4, v23, s28
	s_delay_alu instid0(VALU_DEP_2)
	v_mul_lo_u32 v10, v22, s29
	s_load_b64 s[30:31], s[22:23], 0x0
	v_mad_co_u64_u32 v[8:9], null, v22, s28, 0
	s_load_b64 s[28:29], s[20:21], 0x0
	s_add_nc_u64 s[24:25], s[24:25], 1
	s_add_nc_u64 s[20:21], s[20:21], 8
	s_wait_alu 0xfffe
	v_cmp_ge_u64_e64 s2, s[24:25], s[10:11]
	s_add_nc_u64 s[22:23], s[22:23], 8
	s_add_nc_u64 s[26:27], s[26:27], 8
	v_add3_u32 v4, v9, v10, v4
	v_sub_co_u32 v5, vcc_lo, v5, v8
	s_wait_alu 0xfffd
	s_delay_alu instid0(VALU_DEP_2) | instskip(SKIP_2) | instid1(VALU_DEP_1)
	v_sub_co_ci_u32_e32 v4, vcc_lo, v6, v4, vcc_lo
	s_and_b32 vcc_lo, exec_lo, s2
	s_wait_kmcnt 0x0
	v_mul_lo_u32 v6, s30, v4
	v_mul_lo_u32 v8, s31, v5
	v_mad_co_u64_u32 v[1:2], null, s30, v5, v[1:2]
	v_mul_lo_u32 v4, s28, v4
	v_mul_lo_u32 v9, s29, v5
	v_mad_co_u64_u32 v[20:21], null, s28, v5, v[20:21]
	s_delay_alu instid0(VALU_DEP_4) | instskip(NEXT) | instid1(VALU_DEP_2)
	v_add3_u32 v2, v8, v2, v6
	v_add3_u32 v21, v9, v21, v4
	s_wait_alu 0xfffe
	s_cbranch_vccnz .LBB0_9
; %bb.7:                                ;   in Loop: Header=BB0_2 Depth=1
	v_dual_mov_b32 v5, v22 :: v_dual_mov_b32 v6, v23
	s_branch .LBB0_2
.LBB0_8:
	v_dual_mov_b32 v21, v2 :: v_dual_mov_b32 v20, v1
	s_delay_alu instid0(VALU_DEP_2)
	v_dual_mov_b32 v23, v6 :: v_dual_mov_b32 v22, v5
.LBB0_9:
	s_load_b64 s[0:1], s[0:1], 0x28
	v_mul_hi_u32 v55, 0x3f03f04, v0
	s_lshl_b64 s[10:11], s[10:11], 3
                                        ; implicit-def: $vgpr24
	s_wait_alu 0xfffe
	s_add_nc_u64 s[2:3], s[14:15], s[10:11]
                                        ; implicit-def: $sgpr14
	s_wait_kmcnt 0x0
	v_cmp_gt_u64_e32 vcc_lo, s[0:1], v[22:23]
	v_cmp_le_u64_e64 s0, s[0:1], v[22:23]
	s_delay_alu instid0(VALU_DEP_1)
	s_and_saveexec_b32 s1, s0
	s_wait_alu 0xfffe
	s_xor_b32 s0, exec_lo, s1
; %bb.10:
	v_mul_u32_u24_e32 v1, 0x41, v55
	s_mov_b32 s14, 0
                                        ; implicit-def: $vgpr55
	s_delay_alu instid0(VALU_DEP_1)
	v_sub_nc_u32_e32 v24, v0, v1
                                        ; implicit-def: $vgpr0
                                        ; implicit-def: $vgpr1_vgpr2
; %bb.11:
	s_wait_alu 0xfffe
	s_or_saveexec_b32 s1, s0
	s_load_b64 s[2:3], s[2:3], 0x0
	v_dual_mov_b32 v3, s14 :: v_dual_mov_b32 v34, s14
                                        ; implicit-def: $vgpr35
                                        ; implicit-def: $vgpr33
                                        ; implicit-def: $vgpr53
                                        ; implicit-def: $vgpr4
                                        ; implicit-def: $vgpr54
                                        ; implicit-def: $vgpr5
                                        ; implicit-def: $vgpr51
                                        ; implicit-def: $vgpr6
                                        ; implicit-def: $vgpr50
                                        ; implicit-def: $vgpr8
                                        ; implicit-def: $vgpr48
                                        ; implicit-def: $vgpr9
                                        ; implicit-def: $vgpr36
                                        ; implicit-def: $vgpr10
                                        ; implicit-def: $vgpr67
                                        ; implicit-def: $vgpr39
                                        ; implicit-def: $vgpr63
                                        ; implicit-def: $vgpr38
                                        ; implicit-def: $vgpr62
                                        ; implicit-def: $vgpr37
                                        ; implicit-def: $vgpr57
                                        ; implicit-def: $vgpr31
                                        ; implicit-def: $vgpr40
                                        ; implicit-def: $vgpr19
                                        ; implicit-def: $vgpr30
                                        ; implicit-def: $vgpr18
                                        ; implicit-def: $vgpr11
                                        ; implicit-def: $vgpr64
                                        ; implicit-def: $vgpr13
                                        ; implicit-def: $vgpr61
                                        ; implicit-def: $vgpr14
                                        ; implicit-def: $vgpr43
                                        ; implicit-def: $vgpr15
                                        ; implicit-def: $vgpr42
                                        ; implicit-def: $vgpr16
                                        ; implicit-def: $vgpr41
                                        ; implicit-def: $vgpr17
                                        ; implicit-def: $vgpr28
                                        ; implicit-def: $vgpr44
                                        ; implicit-def: $vgpr32
                                        ; implicit-def: $vgpr45
                                        ; implicit-def: $vgpr29
                                        ; implicit-def: $vgpr46
                                        ; implicit-def: $vgpr27
                                        ; implicit-def: $vgpr47
                                        ; implicit-def: $vgpr26
                                        ; implicit-def: $vgpr49
                                        ; implicit-def: $vgpr25
                                        ; implicit-def: $vgpr52
                                        ; implicit-def: $vgpr12
	s_xor_b32 exec_lo, exec_lo, s1
	s_cbranch_execz .LBB0_15
; %bb.12:
	s_add_nc_u64 s[10:11], s[12:13], s[10:11]
	v_mul_u32_u24_e32 v3, 0x41, v55
	s_load_b64 s[10:11], s[10:11], 0x0
                                        ; implicit-def: $vgpr41
                                        ; implicit-def: $vgpr42
                                        ; implicit-def: $vgpr43
                                        ; implicit-def: $vgpr61
                                        ; implicit-def: $vgpr64
                                        ; implicit-def: $vgpr57
                                        ; implicit-def: $vgpr62
                                        ; implicit-def: $vgpr63
                                        ; implicit-def: $vgpr67
	s_delay_alu instid0(VALU_DEP_1) | instskip(SKIP_1) | instid1(VALU_DEP_2)
	v_sub_nc_u32_e32 v24, v0, v3
	v_lshlrev_b64_e32 v[0:1], 2, v[1:2]
	v_mad_co_u64_u32 v[3:4], null, s18, v24, 0
	v_add_nc_u32_e32 v15, 0x7d, v24
	v_add_nc_u32_e32 v18, 0xfa, v24
	;; [unrolled: 1-line block ×5, first 2 shown]
	v_dual_mov_b32 v2, v4 :: v_dual_add_nc_u32 v31, 0x3e8, v24
	v_mad_co_u64_u32 v[5:6], null, s18, v15, 0
	s_wait_kmcnt 0x0
	v_mul_lo_u32 v4, s11, v22
	v_mul_lo_u32 v16, s10, v23
	v_mad_co_u64_u32 v[10:11], null, s10, v22, 0
	v_mad_co_u64_u32 v[8:9], null, s18, v18, 0
	v_add_nc_u32_e32 v19, 0x177, v24
	v_mad_co_u64_u32 v[12:13], null, s19, v24, v[2:3]
	v_mov_b32_e32 v2, v6
	v_add3_u32 v11, v11, v16, v4
	v_dual_mov_b32 v6, v9 :: v_dual_add_nc_u32 v25, 0x1f4, v24
	v_mad_co_u64_u32 v[13:14], null, s18, v19, 0
	s_delay_alu instid0(VALU_DEP_3) | instskip(SKIP_3) | instid1(VALU_DEP_4)
	v_lshlrev_b64_e32 v[9:10], 2, v[10:11]
	v_mad_co_u64_u32 v[15:16], null, s19, v15, v[2:3]
	v_mov_b32_e32 v4, v12
	v_mad_co_u64_u32 v[11:12], null, s19, v18, v[6:7]
	v_add_co_u32 v12, s0, s4, v9
	s_wait_alu 0xf1ff
	v_add_co_ci_u32_e64 v10, s0, s5, v10, s0
	v_dual_mov_b32 v6, v15 :: v_dual_add_nc_u32 v15, 0x271, v24
	v_lshlrev_b64_e32 v[3:4], 2, v[3:4]
	v_add_co_u32 v0, s0, v12, v0
	s_wait_alu 0xf1ff
	v_add_co_ci_u32_e64 v1, s0, v10, v1, s0
	v_mad_co_u64_u32 v[16:17], null, s18, v25, 0
	v_mov_b32_e32 v2, v14
	v_add_co_u32 v3, s0, v0, v3
	v_mov_b32_e32 v9, v11
	v_mad_co_u64_u32 v[38:39], null, s18, v40, 0
	s_delay_alu instid0(VALU_DEP_3)
	v_mad_co_u64_u32 v[10:11], null, s19, v19, v[2:3]
	v_mov_b32_e32 v2, v17
	v_mad_co_u64_u32 v[18:19], null, s18, v29, 0
	v_lshlrev_b64_e32 v[8:9], 2, v[8:9]
	s_wait_alu 0xf1ff
	v_add_co_ci_u32_e64 v4, s0, v1, v4, s0
	v_mov_b32_e32 v14, v10
	v_mad_co_u64_u32 v[10:11], null, s19, v25, v[2:3]
	v_mad_co_u64_u32 v[11:12], null, s18, v15, 0
	;; [unrolled: 1-line block ×3, first 2 shown]
	v_add_nc_u32_e32 v33, 0x4e2, v24
	s_delay_alu instid0(VALU_DEP_4) | instskip(SKIP_2) | instid1(VALU_DEP_4)
	v_mov_b32_e32 v17, v10
	v_lshlrev_b64_e32 v[5:6], 2, v[5:6]
	v_mov_b32_e32 v2, v12
	v_mad_co_u64_u32 v[34:35], null, s18, v33, 0
	v_mov_b32_e32 v10, v26
	s_delay_alu instid0(VALU_DEP_3)
	v_mad_co_u64_u32 v[27:28], null, s19, v15, v[2:3]
	v_mov_b32_e32 v2, v19
	v_add_co_u32 v5, s0, v0, v5
	v_lshlrev_b64_e32 v[15:16], 2, v[16:17]
	s_wait_alu 0xf1ff
	v_add_co_ci_u32_e64 v6, s0, v1, v6, s0
	v_mov_b32_e32 v12, v27
	v_mad_co_u64_u32 v[26:27], null, s19, v29, v[2:3]
	v_mad_co_u64_u32 v[27:28], null, s19, v30, v[10:11]
	v_add_co_u32 v8, s0, v0, v8
	s_wait_alu 0xf1ff
	v_add_co_ci_u32_e64 v9, s0, v1, v9, s0
	s_delay_alu instid0(VALU_DEP_4) | instskip(SKIP_3) | instid1(VALU_DEP_4)
	v_mov_b32_e32 v19, v26
	v_lshlrev_b64_e32 v[13:14], 2, v[13:14]
	v_mov_b32_e32 v26, v27
	v_mad_co_u64_u32 v[27:28], null, s18, v31, 0
	v_lshlrev_b64_e32 v[17:18], 2, v[18:19]
	v_add_nc_u32_e32 v19, 0x465, v24
	v_add_co_u32 v13, s0, v0, v13
	v_lshlrev_b64_e32 v[10:11], 2, v[11:12]
	s_wait_alu 0xf1ff
	v_add_co_ci_u32_e64 v14, s0, v1, v14, s0
	v_mov_b32_e32 v2, v28
	v_mad_co_u64_u32 v[29:30], null, s18, v19, 0
	v_add_co_u32 v15, s0, v0, v15
	s_wait_alu 0xf1ff
	v_add_co_ci_u32_e64 v16, s0, v1, v16, s0
	v_mad_co_u64_u32 v[31:32], null, s19, v31, v[2:3]
	v_add_co_u32 v10, s0, v0, v10
	v_lshlrev_b64_e32 v[25:26], 2, v[25:26]
	s_wait_alu 0xf1ff
	v_add_co_ci_u32_e64 v11, s0, v1, v11, s0
	v_mov_b32_e32 v2, v30
	v_add_co_u32 v17, s0, v0, v17
	v_mov_b32_e32 v12, v35
	s_wait_alu 0xf1ff
	v_add_co_ci_u32_e64 v18, s0, v1, v18, s0
	v_add_co_u32 v25, s0, v0, v25
	v_mov_b32_e32 v28, v31
	v_mad_co_u64_u32 v[30:31], null, s19, v19, v[2:3]
	s_wait_alu 0xf1ff
	v_add_co_ci_u32_e64 v26, s0, v1, v26, s0
	v_mad_co_u64_u32 v[31:32], null, s19, v33, v[12:13]
	s_clause 0x7
	global_load_b32 v33, v[3:4], off
	global_load_b32 v4, v[5:6], off
	;; [unrolled: 1-line block ×8, first 2 shown]
	v_add_nc_u32_e32 v19, 0x55f, v24
	v_lshlrev_b64_e32 v[13:14], 2, v[27:28]
	v_lshlrev_b64_e32 v[15:16], 2, v[29:30]
                                        ; implicit-def: $vgpr28
                                        ; implicit-def: $vgpr11
	s_delay_alu instid0(VALU_DEP_3) | instskip(SKIP_1) | instid1(VALU_DEP_4)
	v_mad_co_u64_u32 v[36:37], null, s18, v19, 0
	v_mov_b32_e32 v35, v31
	v_add_co_u32 v13, s0, v0, v13
	s_wait_alu 0xf1ff
	v_add_co_ci_u32_e64 v14, s0, v1, v14, s0
	s_delay_alu instid0(VALU_DEP_4) | instskip(NEXT) | instid1(VALU_DEP_1)
	v_mov_b32_e32 v2, v37
	v_mad_co_u64_u32 v[2:3], null, s19, v19, v[2:3]
	v_mov_b32_e32 v3, v39
	s_delay_alu instid0(VALU_DEP_2) | instskip(SKIP_2) | instid1(VALU_DEP_3)
	v_mov_b32_e32 v37, v2
	v_add_co_u32 v2, s0, v0, v15
	s_wait_loadcnt 0x6
	v_mad_co_u64_u32 v[17:18], null, s19, v40, v[3:4]
	v_lshlrev_b64_e32 v[18:19], 2, v[34:35]
	s_wait_alu 0xf1ff
	v_add_co_ci_u32_e64 v3, s0, v1, v16, s0
	v_lshlrev_b64_e32 v[15:16], 2, v[36:37]
	v_mov_b32_e32 v34, 0
                                        ; implicit-def: $vgpr40
                                        ; implicit-def: $vgpr37
	v_mov_b32_e32 v39, v17
	v_add_co_u32 v17, s0, v0, v18
	s_wait_alu 0xf1ff
	v_add_co_ci_u32_e64 v18, s0, v1, v19, s0
	s_delay_alu instid0(VALU_DEP_3) | instskip(SKIP_3) | instid1(VALU_DEP_3)
	v_lshlrev_b64_e32 v[25:26], 2, v[38:39]
	v_add_co_u32 v15, s0, v0, v15
	s_wait_alu 0xf1ff
	v_add_co_ci_u32_e64 v16, s0, v1, v16, s0
                                        ; implicit-def: $vgpr19
                                        ; implicit-def: $vgpr38
                                        ; implicit-def: $vgpr39
	v_add_co_u32 v30, s0, v0, v25
	s_wait_alu 0xf1ff
	v_add_co_ci_u32_e64 v31, s0, v1, v26, s0
	s_clause 0x4
	global_load_b32 v25, v[13:14], off
	global_load_b32 v26, v[2:3], off
	;; [unrolled: 1-line block ×5, first 2 shown]
	v_mov_b32_e32 v3, 0
	v_cmp_gt_u32_e64 s0, 60, v24
                                        ; implicit-def: $vgpr17
                                        ; implicit-def: $vgpr16
                                        ; implicit-def: $vgpr15
                                        ; implicit-def: $vgpr14
                                        ; implicit-def: $vgpr13
                                        ; implicit-def: $vgpr18
                                        ; implicit-def: $vgpr30
                                        ; implicit-def: $vgpr31
	s_delay_alu instid0(VALU_DEP_1)
	s_and_saveexec_b32 s4, s0
	s_cbranch_execz .LBB0_14
; %bb.13:
	v_add_nc_u32_e32 v28, 0xbe, v24
	v_add_nc_u32_e32 v34, 0x13b, v24
	;; [unrolled: 1-line block ×3, first 2 shown]
	s_delay_alu instid0(VALU_DEP_3) | instskip(NEXT) | instid1(VALU_DEP_3)
	v_mad_co_u64_u32 v[13:14], null, s18, v28, 0
	v_mad_co_u64_u32 v[15:16], null, s18, v34, 0
	s_delay_alu instid0(VALU_DEP_3) | instskip(NEXT) | instid1(VALU_DEP_3)
	v_mad_co_u64_u32 v[56:57], null, s18, v58, 0
	v_mov_b32_e32 v11, v14
	s_wait_loadcnt 0x5
	s_delay_alu instid0(VALU_DEP_1) | instskip(NEXT) | instid1(VALU_DEP_1)
	v_mad_co_u64_u32 v[30:31], null, s19, v28, v[11:12]
	v_dual_mov_b32 v14, v30 :: v_dual_add_nc_u32 v17, 0x41, v24
	s_delay_alu instid0(VALU_DEP_1) | instskip(NEXT) | instid1(VALU_DEP_2)
	v_mad_co_u64_u32 v[2:3], null, s18, v17, 0
	v_lshlrev_b64_e32 v[13:14], 2, v[13:14]
	s_delay_alu instid0(VALU_DEP_2) | instskip(SKIP_1) | instid1(VALU_DEP_1)
	v_mad_co_u64_u32 v[17:18], null, s19, v17, v[3:4]
	v_dual_mov_b32 v3, v16 :: v_dual_add_nc_u32 v28, 0x235, v24
	v_mad_co_u64_u32 v[34:35], null, s19, v34, v[3:4]
	s_delay_alu instid0(VALU_DEP_3) | instskip(SKIP_1) | instid1(VALU_DEP_4)
	v_mov_b32_e32 v3, v17
	v_add_nc_u32_e32 v37, 0x1b8, v24
	v_mad_co_u64_u32 v[35:36], null, s18, v28, 0
	s_delay_alu instid0(VALU_DEP_3) | instskip(SKIP_1) | instid1(VALU_DEP_4)
	v_lshlrev_b64_e32 v[2:3], 2, v[2:3]
	v_mov_b32_e32 v16, v34
	v_mad_co_u64_u32 v[18:19], null, s18, v37, 0
	v_add_nc_u32_e32 v34, 0x2b2, v24
	s_delay_alu instid0(VALU_DEP_4) | instskip(NEXT) | instid1(VALU_DEP_4)
	v_add_co_u32 v2, s0, v0, v2
	v_lshlrev_b64_e32 v[15:16], 2, v[15:16]
	s_wait_alu 0xf1ff
	v_add_co_ci_u32_e64 v3, s0, v1, v3, s0
	v_mov_b32_e32 v11, v19
	v_add_co_u32 v13, s0, v0, v13
	s_wait_alu 0xf1ff
	v_add_co_ci_u32_e64 v14, s0, v1, v14, s0
	s_delay_alu instid0(VALU_DEP_3)
	v_mad_co_u64_u32 v[30:31], null, s19, v37, v[11:12]
	v_mad_co_u64_u32 v[37:38], null, s18, v34, 0
	v_mov_b32_e32 v11, v36
	v_add_co_u32 v15, s0, v0, v15
	s_wait_alu 0xf1ff
	v_add_co_ci_u32_e64 v16, s0, v1, v16, s0
	v_mov_b32_e32 v19, v30
	v_mad_co_u64_u32 v[30:31], null, s19, v28, v[11:12]
	v_dual_mov_b32 v11, v38 :: v_dual_add_nc_u32 v28, 0x32f, v24
	s_delay_alu instid0(VALU_DEP_1) | instskip(NEXT) | instid1(VALU_DEP_3)
	v_mad_co_u64_u32 v[41:42], null, s19, v34, v[11:12]
	v_dual_mov_b32 v36, v30 :: v_dual_add_nc_u32 v43, 0x3ac, v24
	s_delay_alu instid0(VALU_DEP_3) | instskip(SKIP_1) | instid1(VALU_DEP_4)
	v_mad_co_u64_u32 v[30:31], null, s18, v28, 0
	v_lshlrev_b64_e32 v[17:18], 2, v[18:19]
	v_mov_b32_e32 v38, v41
	s_delay_alu instid0(VALU_DEP_4)
	v_mad_co_u64_u32 v[39:40], null, s18, v43, 0
	v_lshlrev_b64_e32 v[34:35], 2, v[35:36]
	v_mov_b32_e32 v11, v31
	v_add_co_u32 v17, s0, v0, v17
	s_wait_alu 0xf1ff
	v_add_co_ci_u32_e64 v18, s0, v1, v18, s0
	v_mov_b32_e32 v19, v40
	v_mad_co_u64_u32 v[40:41], null, s19, v28, v[11:12]
	v_add_nc_u32_e32 v28, 0x4a6, v24
	s_delay_alu instid0(VALU_DEP_3)
	v_mad_co_u64_u32 v[41:42], null, s19, v43, v[19:20]
	v_add_co_u32 v42, s0, v0, v34
	v_add_nc_u32_e32 v19, 0x429, v24
	s_wait_alu 0xf1ff
	v_add_co_ci_u32_e64 v43, s0, v1, v35, s0
	v_lshlrev_b64_e32 v[34:35], 2, v[37:38]
	v_dual_mov_b32 v31, v40 :: v_dual_mov_b32 v40, v41
	v_mad_co_u64_u32 v[44:45], null, s18, v19, 0
	v_add_nc_u32_e32 v38, 0x523, v24
	s_delay_alu instid0(VALU_DEP_4)
	v_add_co_u32 v46, s0, v0, v34
	s_wait_alu 0xf1ff
	v_add_co_ci_u32_e64 v47, s0, v1, v35, s0
	v_lshlrev_b64_e32 v[34:35], 2, v[39:40]
	v_mad_co_u64_u32 v[40:41], null, s18, v28, 0
	v_mov_b32_e32 v11, v45
	v_lshlrev_b64_e32 v[30:31], 2, v[30:31]
	v_mad_co_u64_u32 v[48:49], null, s18, v38, 0
	s_delay_alu instid0(VALU_DEP_3) | instskip(SKIP_1) | instid1(VALU_DEP_4)
	v_mad_co_u64_u32 v[36:37], null, s19, v19, v[11:12]
	v_mov_b32_e32 v11, v41
	v_add_co_u32 v50, s0, v0, v30
	s_wait_alu 0xf1ff
	v_add_co_ci_u32_e64 v51, s0, v1, v31, s0
	s_delay_alu instid0(VALU_DEP_3)
	v_mad_co_u64_u32 v[30:31], null, s19, v28, v[11:12]
	v_add_nc_u32_e32 v11, 0x5a0, v24
	v_mov_b32_e32 v19, v49
	v_add_co_u32 v52, s0, v0, v34
	s_wait_alu 0xf1ff
	v_add_co_ci_u32_e64 v53, s0, v1, v35, s0
	v_mad_co_u64_u32 v[54:55], null, s18, v11, 0
	v_mov_b32_e32 v45, v36
	v_mad_co_u64_u32 v[35:36], null, s19, v38, v[19:20]
	s_clause 0x7
	global_load_b32 v34, v[2:3], off
	global_load_b32 v39, v[13:14], off
	;; [unrolled: 1-line block ×8, first 2 shown]
	v_mov_b32_e32 v41, v30
	v_lshlrev_b64_e32 v[13:14], 2, v[44:45]
	v_dual_mov_b32 v2, v55 :: v_dual_mov_b32 v49, v35
	s_delay_alu instid0(VALU_DEP_3) | instskip(NEXT) | instid1(VALU_DEP_2)
	v_lshlrev_b64_e32 v[15:16], 2, v[40:41]
	v_mad_co_u64_u32 v[2:3], null, s19, v11, v[2:3]
	v_mov_b32_e32 v3, v57
	v_add_co_u32 v13, s0, v0, v13
	v_lshlrev_b64_e32 v[40:41], 2, v[48:49]
	s_wait_alu 0xf1ff
	v_add_co_ci_u32_e64 v14, s0, v1, v14, s0
	v_mad_co_u64_u32 v[35:36], null, s19, v58, v[3:4]
	v_mov_b32_e32 v55, v2
	v_add_co_u32 v2, s0, v0, v15
	s_wait_alu 0xf1ff
	v_add_co_ci_u32_e64 v3, s0, v1, v16, s0
	s_delay_alu instid0(VALU_DEP_3) | instskip(SKIP_4) | instid1(VALU_DEP_3)
	v_lshlrev_b64_e32 v[15:16], 2, v[54:55]
	v_mov_b32_e32 v57, v35
	v_add_co_u32 v35, s0, v0, v40
	s_wait_alu 0xf1ff
	v_add_co_ci_u32_e64 v36, s0, v1, v41, s0
	v_lshlrev_b64_e32 v[40:41], 2, v[56:57]
	v_add_co_u32 v15, s0, v0, v15
	s_wait_alu 0xf1ff
	v_add_co_ci_u32_e64 v16, s0, v1, v16, s0
	s_delay_alu instid0(VALU_DEP_3)
	v_add_co_u32 v0, s0, v0, v40
	s_wait_alu 0xf1ff
	v_add_co_ci_u32_e64 v1, s0, v1, v41, s0
	s_clause 0x4
	global_load_b32 v41, v[13:14], off
	global_load_b32 v42, v[2:3], off
	;; [unrolled: 1-line block ×5, first 2 shown]
	s_wait_loadcnt 0xc
	v_lshrrev_b32_e32 v3, 16, v34
	s_wait_loadcnt 0xb
	v_lshrrev_b32_e32 v67, 16, v39
	;; [unrolled: 2-line block ×13, first 2 shown]
.LBB0_14:
	s_wait_alu 0xfffe
	s_or_b32 exec_lo, exec_lo, s4
	v_lshrrev_b32_e32 v35, 16, v33
	v_lshrrev_b32_e32 v53, 16, v4
	s_wait_loadcnt 0xa
	v_lshrrev_b32_e32 v54, 16, v5
	s_wait_loadcnt 0x9
	;; [unrolled: 2-line block ×11, first 2 shown]
	v_lshrrev_b32_e32 v44, 16, v32
.LBB0_15:
	s_or_b32 exec_lo, exec_lo, s1
	s_delay_alu instid0(VALU_DEP_1)
	v_sub_f16_e32 v55, v53, v44
	v_add_f16_e32 v0, v33, v4
	v_and_b32_e32 v2, 1, v7
	v_add_f16_e32 v7, v32, v4
	v_sub_f16_e32 v58, v54, v45
	v_pk_mul_f16 v73, 0xba95b770, v55 op_sel_hi:[1,0]
	v_add_f16_e32 v0, v0, v5
	v_add_f16_e32 v56, v29, v5
	v_sub_f16_e32 v60, v51, v46
	v_pk_mul_f16 v74, 0xbb7bba95, v58 op_sel_hi:[1,0]
	v_pk_fma_f16 v68, 0x388b3b15, v7, v73 op_sel_hi:[1,0,1]
	v_add_f16_e32 v0, v0, v6
	v_add_f16_e32 v59, v27, v6
	v_sub_f16_e32 v66, v50, v47
	v_pk_mul_f16 v75, 0xb3a8bbf1, v60 op_sel_hi:[1,0]
	v_pk_fma_f16 v82, 0xb5ac388b, v56, v74 op_sel_hi:[1,0,1]
	v_pk_add_f16 v68, v68, v33 op_sel_hi:[1,0]
	v_add_f16_e32 v0, v0, v8
	v_add_f16_e32 v65, v26, v8
	v_sub_f16_e32 v70, v48, v49
	v_pk_mul_f16 v76, 0x394ebb7b, v66 op_sel_hi:[1,0]
	v_pk_mul_f16 v79, 0xbb7bbbf1, v55 op_sel_hi:[1,0]
	;; [unrolled: 1-line block ×3, first 2 shown]
	v_pk_fma_f16 v83, 0xbbc42fb7, v59, v75 op_sel_hi:[1,0,1]
	v_pk_add_f16 v68, v68, v82
	v_add_f16_e32 v0, v0, v9
	v_add_f16_e32 v69, v25, v9
	v_pk_mul_f16 v77, 0x3bf1b94e, v70 op_sel_hi:[1,0]
	v_pk_mul_f16 v80, 0x394eb3a8, v58 op_sel_hi:[1,0]
	;; [unrolled: 1-line block ×3, first 2 shown]
	v_pk_fma_f16 v84, 0xb9fdb5ac, v65, v76 op_sel_hi:[1,0,1]
	v_pk_fma_f16 v85, 0xb5ac2fb7, v7, v79 op_sel_hi:[1,0,1]
	v_pk_add_f16 v68, v68, v83
	v_pk_fma_f16 v87, 0xbbc4b9fd, v7, v55 op_sel_hi:[1,0,1]
	v_pk_fma_f16 v55, 0xbbc4b9fd, v7, v55 op_sel_hi:[1,0,1] neg_lo:[0,0,1] neg_hi:[0,0,1]
	v_pk_fma_f16 v79, 0xb5ac2fb7, v7, v79 op_sel_hi:[1,0,1] neg_lo:[0,0,1] neg_hi:[0,0,1]
	;; [unrolled: 1-line block ×3, first 2 shown]
	v_add_f16_e32 v0, v0, v10
	v_pk_mul_f16 v81, 0x37703b7b, v60 op_sel_hi:[1,0]
	v_pk_fma_f16 v83, 0x2fb7b9fd, v69, v77 op_sel_hi:[1,0,1]
	v_pk_fma_f16 v86, 0xb9fdbbc4, v56, v80 op_sel_hi:[1,0,1]
	v_pk_add_f16 v85, v85, v33 op_sel_hi:[1,0]
	v_pk_add_f16 v68, v68, v84
	v_pk_fma_f16 v88, 0x3b152fb7, v56, v58 op_sel_hi:[1,0,1]
	v_pk_mul_f16 v60, 0xb94eba95, v60 op_sel_hi:[1,0]
	v_pk_add_f16 v55, v55, v33 op_sel_hi:[1,0]
	v_pk_fma_f16 v58, 0x3b152fb7, v56, v58 op_sel_hi:[1,0,1] neg_lo:[0,0,1] neg_hi:[0,0,1]
	v_pk_add_f16 v87, v87, v33 op_sel_hi:[1,0]
	v_pk_add_f16 v73, v79, v33 op_sel_hi:[1,0]
	v_pk_fma_f16 v79, 0xb9fdbbc4, v56, v80 op_sel_hi:[1,0,1] neg_lo:[0,0,1] neg_hi:[0,0,1]
	v_pk_add_f16 v7, v7, v33 op_sel_hi:[1,0]
	v_pk_fma_f16 v33, 0xb5ac388b, v56, v74 op_sel_hi:[1,0,1] neg_lo:[0,0,1] neg_hi:[0,0,1]
	v_add_f16_e32 v0, v0, v12
	v_pk_add_f16 v85, v85, v86
	v_pk_add_f16 v68, v68, v83
	v_pk_fma_f16 v83, 0x3b15b5ac, v59, v81 op_sel_hi:[1,0,1]
	v_pk_mul_f16 v86, 0xbbf13770, v66 op_sel_hi:[1,0]
	v_pk_mul_f16 v66, 0x3a9533a8, v66 op_sel_hi:[1,0]
	v_pk_add_f16 v55, v55, v58
	v_pk_fma_f16 v56, 0xb9fd388b, v59, v60 op_sel_hi:[1,0,1] neg_lo:[0,0,1] neg_hi:[0,0,1]
	v_pk_add_f16 v87, v87, v88
	v_pk_fma_f16 v88, 0xb9fd388b, v59, v60 op_sel_hi:[1,0,1]
	v_pk_add_f16 v58, v73, v79
	v_pk_fma_f16 v60, 0x3b15b5ac, v59, v81 op_sel_hi:[1,0,1] neg_lo:[0,0,1] neg_hi:[0,0,1]
	v_pk_add_f16 v7, v7, v33
	v_pk_fma_f16 v33, 0xbbc42fb7, v59, v75 op_sel_hi:[1,0,1] neg_lo:[0,0,1] neg_hi:[0,0,1]
	v_add_f16_e32 v0, v25, v0
	v_sub_f16_e32 v72, v36, v52
	v_pk_add_f16 v83, v85, v83
	v_pk_fma_f16 v85, 0x2fb73b15, v65, v86 op_sel_hi:[1,0,1]
	v_pk_mul_f16 v89, 0x33a8ba95, v70 op_sel_hi:[1,0]
	v_pk_mul_f16 v70, 0xbb7b3770, v70 op_sel_hi:[1,0]
	v_pk_add_f16 v55, v55, v56
	v_pk_fma_f16 v56, 0x388bbbc4, v65, v66 op_sel_hi:[1,0,1] neg_lo:[0,0,1] neg_hi:[0,0,1]
	v_pk_add_f16 v58, v58, v60
	v_pk_fma_f16 v59, 0x2fb73b15, v65, v86 op_sel_hi:[1,0,1] neg_lo:[0,0,1] neg_hi:[0,0,1]
	;; [unrolled: 2-line block ×3, first 2 shown]
	v_add_f16_e32 v82, v26, v0
	v_add_f16_e32 v71, v12, v10
	v_pk_mul_f16 v78, 0x3770b3a8, v72 op_sel_hi:[1,0]
	v_pk_add_f16 v83, v83, v85
	v_pk_fma_f16 v85, 0xbbc4388b, v69, v89 op_sel_hi:[1,0,1]
	v_pk_mul_f16 v90, 0x3a95b94e, v72 op_sel_hi:[1,0]
	v_pk_add_f16 v87, v87, v88
	v_pk_fma_f16 v88, 0x388bbbc4, v65, v66 op_sel_hi:[1,0,1]
	v_pk_mul_f16 v72, 0x3bf1bb7b, v72 op_sel_hi:[1,0]
	v_pk_add_f16 v55, v55, v56
	v_pk_fma_f16 v56, 0xb5ac3b15, v69, v70 op_sel_hi:[1,0,1] neg_lo:[0,0,1] neg_hi:[0,0,1]
	v_pk_add_f16 v58, v58, v59
	v_pk_fma_f16 v59, 0xbbc4388b, v69, v89 op_sel_hi:[1,0,1] neg_lo:[0,0,1] neg_hi:[0,0,1]
	;; [unrolled: 2-line block ×3, first 2 shown]
	v_cmp_eq_u32_e64 s0, 1, v2
	v_add_f16_e32 v82, v27, v82
	v_pk_fma_f16 v84, 0x3b15bbc4, v71, v78 op_sel_hi:[1,0,1]
	v_pk_add_f16 v83, v83, v85
	v_pk_add_f16 v85, v87, v88
	v_pk_fma_f16 v87, 0xb5ac3b15, v69, v70 op_sel_hi:[1,0,1]
	v_pk_add_f16 v55, v55, v56
	v_pk_fma_f16 v56, 0x2fb7b5ac, v71, v72 op_sel_hi:[1,0,1] neg_lo:[0,0,1] neg_hi:[0,0,1]
	v_pk_add_f16 v58, v58, v59
	v_pk_fma_f16 v59, 0x388bb9fd, v71, v90 op_sel_hi:[1,0,1] neg_lo:[0,0,1] neg_hi:[0,0,1]
	;; [unrolled: 2-line block ×3, first 2 shown]
	v_mad_u32_u24 v1, v24, 26, 0
	s_wait_alu 0xf1ff
	v_cndmask_b32_e64 v2, 0, 0x659, s0
	v_add_f16_e32 v82, v29, v82
	v_pk_add_f16 v68, v68, v84
	v_pk_fma_f16 v84, 0x388bb9fd, v71, v90 op_sel_hi:[1,0,1]
	v_pk_add_f16 v60, v85, v87
	v_pk_fma_f16 v65, 0x2fb7b5ac, v71, v72 op_sel_hi:[1,0,1]
	v_pk_add_f16 v55, v55, v56
	v_pk_add_f16 v56, v58, v59
	v_pk_add_f16 v7, v7, v33
	v_lshl_add_u32 v0, v2, 1, v1
	v_add_f16_e32 v82, v32, v82
	v_cmp_gt_u32_e64 s0, 60, v24
	v_pk_add_f16 v69, v83, v84
	v_pk_add_f16 v70, v60, v65
	v_alignbit_b32 v71, v55, v55, 16
	v_alignbit_b32 v55, v56, v56, 16
	;; [unrolled: 1-line block ×3, first 2 shown]
	ds_store_b16 v0, v82
	ds_store_b128 v0, v[68:71] offset:2
	ds_store_b64 v0, v[55:56] offset:18
	s_and_saveexec_b32 s1, s0
	s_cbranch_execz .LBB0_17
; %bb.16:
	v_sub_f16_e32 v55, v67, v11
	v_add_f16_e32 v33, v39, v64
	v_sub_f16_e32 v58, v63, v13
	v_add_f16_e32 v7, v34, v39
	v_add_f16_e32 v56, v38, v61
	v_pk_mul_f16 v73, 0xba95b770, v55 op_sel_hi:[1,0]
	v_sub_f16_e32 v60, v62, v14
	v_pk_mul_f16 v74, 0xbb7bba95, v58 op_sel_hi:[1,0]
	v_add_f16_e32 v7, v7, v38
	v_add_f16_e32 v59, v37, v43
	v_pk_fma_f16 v68, 0x388b3b15, v33, v73 op_sel_hi:[1,0,1]
	v_sub_f16_e32 v66, v57, v15
	v_pk_mul_f16 v75, 0xb3a8bbf1, v60 op_sel_hi:[1,0]
	v_pk_fma_f16 v84, 0xb5ac388b, v56, v74 op_sel_hi:[1,0,1]
	v_add_f16_e32 v7, v7, v37
	v_pk_add_f16 v68, v34, v68 op_sel_hi:[0,1]
	v_add_f16_e32 v65, v31, v42
	v_sub_f16_e32 v70, v40, v16
	v_pk_mul_f16 v76, 0x394ebb7b, v66 op_sel_hi:[1,0]
	v_pk_mul_f16 v79, 0xbb7bbbf1, v55 op_sel_hi:[1,0]
	v_pk_fma_f16 v85, 0xbbc42fb7, v59, v75 op_sel_hi:[1,0,1]
	v_pk_add_f16 v68, v68, v84
	v_add_f16_e32 v7, v7, v31
	v_add_f16_e32 v69, v19, v41
	v_pk_mul_f16 v77, 0x3bf1b94e, v70 op_sel_hi:[1,0]
	v_pk_mul_f16 v80, 0x394eb3a8, v58 op_sel_hi:[1,0]
	;; [unrolled: 1-line block ×3, first 2 shown]
	v_pk_fma_f16 v86, 0xb9fdb5ac, v65, v76 op_sel_hi:[1,0,1]
	v_pk_fma_f16 v87, 0xb5ac2fb7, v33, v79 op_sel_hi:[1,0,1]
	v_pk_add_f16 v68, v68, v85
	v_add_f16_e32 v7, v7, v19
	v_pk_mul_f16 v81, 0x37703b7b, v60 op_sel_hi:[1,0]
	v_pk_mul_f16 v58, 0x37703bf1, v58 op_sel_hi:[1,0]
	v_pk_fma_f16 v84, 0x2fb7b9fd, v69, v77 op_sel_hi:[1,0,1]
	v_pk_fma_f16 v88, 0xb9fdbbc4, v56, v80 op_sel_hi:[1,0,1]
	v_pk_add_f16 v87, v34, v87 op_sel_hi:[0,1]
	v_pk_fma_f16 v89, 0xbbc4b9fd, v33, v55 op_sel_hi:[1,0,1]
	v_pk_add_f16 v68, v68, v86
	v_pk_fma_f16 v55, 0xbbc4b9fd, v33, v55 op_sel_hi:[1,0,1] neg_lo:[0,0,1] neg_hi:[0,0,1]
	v_pk_fma_f16 v79, 0xb5ac2fb7, v33, v79 op_sel_hi:[1,0,1] neg_lo:[0,0,1] neg_hi:[0,0,1]
	v_pk_fma_f16 v33, 0x388b3b15, v33, v73 op_sel_hi:[1,0,1] neg_lo:[0,0,1] neg_hi:[0,0,1]
	v_add_f16_e32 v7, v7, v18
	v_pk_mul_f16 v82, 0xbbf13770, v66 op_sel_hi:[1,0]
	v_pk_fma_f16 v85, 0x3b15b5ac, v59, v81 op_sel_hi:[1,0,1]
	v_pk_add_f16 v87, v87, v88
	v_pk_add_f16 v68, v68, v84
	v_pk_fma_f16 v84, 0x3b152fb7, v56, v58 op_sel_hi:[1,0,1]
	v_pk_mul_f16 v60, 0xb94eba95, v60 op_sel_hi:[1,0]
	v_pk_add_f16 v55, v34, v55 op_sel_hi:[0,1]
	v_pk_fma_f16 v58, 0x3b152fb7, v56, v58 op_sel_hi:[1,0,1] neg_lo:[0,0,1] neg_hi:[0,0,1]
	v_pk_add_f16 v88, v34, v89 op_sel_hi:[0,1]
	v_pk_add_f16 v73, v34, v79 op_sel_hi:[0,1]
	v_pk_fma_f16 v79, 0xb9fdbbc4, v56, v80 op_sel_hi:[1,0,1] neg_lo:[0,0,1] neg_hi:[0,0,1]
	v_pk_add_f16 v33, v34, v33 op_sel_hi:[0,1]
	v_pk_fma_f16 v34, 0xb5ac388b, v56, v74 op_sel_hi:[1,0,1] neg_lo:[0,0,1] neg_hi:[0,0,1]
	v_add_f16_e32 v7, v7, v28
	v_pk_mul_f16 v83, 0x33a8ba95, v70 op_sel_hi:[1,0]
	v_pk_fma_f16 v86, 0x2fb73b15, v65, v82 op_sel_hi:[1,0,1]
	v_pk_add_f16 v85, v87, v85
	v_pk_mul_f16 v66, 0x3a9533a8, v66 op_sel_hi:[1,0]
	v_pk_add_f16 v55, v55, v58
	v_pk_fma_f16 v56, 0xb9fd388b, v59, v60 op_sel_hi:[1,0,1] neg_lo:[0,0,1] neg_hi:[0,0,1]
	v_pk_add_f16 v84, v88, v84
	v_pk_fma_f16 v88, 0xb9fd388b, v59, v60 op_sel_hi:[1,0,1]
	v_pk_add_f16 v58, v73, v79
	v_pk_fma_f16 v60, 0x3b15b5ac, v59, v81 op_sel_hi:[1,0,1] neg_lo:[0,0,1] neg_hi:[0,0,1]
	v_pk_add_f16 v33, v33, v34
	v_pk_fma_f16 v34, 0xbbc42fb7, v59, v75 op_sel_hi:[1,0,1] neg_lo:[0,0,1] neg_hi:[0,0,1]
	v_add_f16_e32 v7, v41, v7
	v_sub_f16_e32 v72, v30, v17
	v_pk_add_f16 v85, v85, v86
	v_pk_fma_f16 v86, 0xbbc4388b, v69, v83 op_sel_hi:[1,0,1]
	v_pk_mul_f16 v70, 0xbb7b3770, v70 op_sel_hi:[1,0]
	v_pk_add_f16 v55, v55, v56
	v_pk_fma_f16 v56, 0x388bbbc4, v65, v66 op_sel_hi:[1,0,1] neg_lo:[0,0,1] neg_hi:[0,0,1]
	v_pk_add_f16 v58, v58, v60
	v_pk_fma_f16 v59, 0x2fb73b15, v65, v82 op_sel_hi:[1,0,1] neg_lo:[0,0,1] neg_hi:[0,0,1]
	v_pk_add_f16 v33, v33, v34
	v_pk_fma_f16 v34, 0xb9fdb5ac, v65, v76 op_sel_hi:[1,0,1] neg_lo:[0,0,1] neg_hi:[0,0,1]
	v_add_f16_e32 v7, v42, v7
	v_add_f16_e32 v71, v18, v28
	v_pk_mul_f16 v78, 0x3770b3a8, v72 op_sel_hi:[1,0]
	v_pk_mul_f16 v89, 0x3a95b94e, v72 op_sel_hi:[1,0]
	v_pk_add_f16 v85, v85, v86
	v_pk_add_f16 v84, v84, v88
	v_pk_fma_f16 v86, 0x388bbbc4, v65, v66 op_sel_hi:[1,0,1]
	v_pk_mul_f16 v72, 0x3bf1bb7b, v72 op_sel_hi:[1,0]
	v_pk_add_f16 v55, v55, v56
	v_pk_fma_f16 v56, 0xb5ac3b15, v69, v70 op_sel_hi:[1,0,1] neg_lo:[0,0,1] neg_hi:[0,0,1]
	v_pk_add_f16 v58, v58, v59
	v_pk_fma_f16 v59, 0xbbc4388b, v69, v83 op_sel_hi:[1,0,1] neg_lo:[0,0,1] neg_hi:[0,0,1]
	;; [unrolled: 2-line block ×3, first 2 shown]
	v_add_f16_e32 v7, v43, v7
	v_pk_fma_f16 v87, 0x3b15bbc4, v71, v78 op_sel_hi:[1,0,1]
	v_pk_add_f16 v84, v84, v86
	v_pk_fma_f16 v86, 0xb5ac3b15, v69, v70 op_sel_hi:[1,0,1]
	v_pk_add_f16 v55, v55, v56
	v_pk_fma_f16 v56, 0x2fb7b5ac, v71, v72 op_sel_hi:[1,0,1] neg_lo:[0,0,1] neg_hi:[0,0,1]
	v_pk_add_f16 v58, v58, v59
	v_pk_fma_f16 v59, 0x388bb9fd, v71, v89 op_sel_hi:[1,0,1] neg_lo:[0,0,1] neg_hi:[0,0,1]
	;; [unrolled: 2-line block ×3, first 2 shown]
	v_add_f16_e32 v7, v61, v7
	v_pk_add_f16 v68, v68, v87
	v_pk_fma_f16 v87, 0x388bb9fd, v71, v89 op_sel_hi:[1,0,1]
	v_pk_add_f16 v60, v84, v86
	v_pk_fma_f16 v65, 0x2fb7b5ac, v71, v72 op_sel_hi:[1,0,1]
	v_pk_add_f16 v55, v55, v56
	v_pk_add_f16 v56, v58, v59
	;; [unrolled: 1-line block ×3, first 2 shown]
	v_add_f16_e32 v7, v64, v7
	v_pk_add_f16 v69, v85, v87
	v_pk_add_f16 v70, v60, v65
	v_alignbit_b32 v71, v55, v55, 16
	v_alignbit_b32 v33, v56, v56, 16
	;; [unrolled: 1-line block ×3, first 2 shown]
	ds_store_b16 v0, v7 offset:1690
	ds_store_b128 v0, v[68:71] offset:1692
	ds_store_b64 v0, v[33:34] offset:1708
.LBB0_17:
	s_wait_alu 0xfffe
	s_or_b32 exec_lo, exec_lo, s1
	v_add_f16_e32 v7, v35, v53
	v_sub_f16_e32 v32, v4, v32
	v_add_f16_e32 v33, v44, v53
	v_sub_f16_e32 v5, v5, v29
	v_sub_f16_e32 v10, v10, v12
	v_add_f16_e32 v4, v7, v54
	v_pk_mul_f16 v12, 0xba95b770, v32 op_sel_hi:[1,0]
	v_add_f16_e32 v34, v45, v54
	v_sub_f16_e32 v6, v6, v27
	v_sub_f16_e32 v9, v9, v25
	v_add_f16_e32 v4, v4, v51
	v_pk_mul_f16 v25, 0xbb7bba95, v5 op_sel_hi:[1,0]
	v_pk_fma_f16 v56, 0x388b3b15, v33, v12 op_sel_hi:[1,0,1] neg_lo:[0,0,1] neg_hi:[0,0,1]
	v_sub_f16_e32 v8, v8, v26
	v_add_f16_e32 v7, v46, v51
	v_add_f16_e32 v4, v4, v50
	v_pk_mul_f16 v29, 0xb3a8bbf1, v6 op_sel_hi:[1,0]
	v_pk_fma_f16 v58, 0xb5ac388b, v34, v25 op_sel_hi:[1,0,1] neg_lo:[0,0,1] neg_hi:[0,0,1]
	v_pk_add_f16 v56, v56, v35 op_sel_hi:[1,0]
	v_add_f16_e32 v27, v47, v50
	v_add_f16_e32 v4, v4, v48
	v_pk_mul_f16 v50, 0x394ebb7b, v8 op_sel_hi:[1,0]
	v_pk_mul_f16 v53, 0xbb7bbbf1, v32 op_sel_hi:[1,0]
	v_pk_fma_f16 v12, 0x388b3b15, v33, v12 op_sel_hi:[1,0,1]
	v_add_f16_e32 v26, v49, v48
	v_add_f16_e32 v4, v4, v36
	v_add_f16_e32 v70, v52, v36
	v_pk_mul_f16 v54, 0x394eb3a8, v5 op_sel_hi:[1,0]
	v_pk_fma_f16 v59, 0xb9fdb5ac, v27, v50 op_sel_hi:[1,0,1] neg_lo:[0,0,1] neg_hi:[0,0,1]
	v_pk_fma_f16 v25, 0xb5ac388b, v34, v25 op_sel_hi:[1,0,1]
	v_add_f16_e32 v4, v4, v52
	v_pk_fma_f16 v52, 0xbbc42fb7, v7, v29 op_sel_hi:[1,0,1] neg_lo:[0,0,1] neg_hi:[0,0,1]
	v_pk_add_f16 v12, v12, v35 op_sel_hi:[1,0]
	v_pk_mul_f16 v48, 0x3bf1b94e, v9 op_sel_hi:[1,0]
	v_pk_mul_f16 v36, 0x37703b7b, v6 op_sel_hi:[1,0]
	v_add_f16_e32 v4, v49, v4
	v_pk_add_f16 v49, v56, v58
	v_pk_fma_f16 v29, 0xbbc42fb7, v7, v29 op_sel_hi:[1,0,1]
	v_pk_add_f16 v12, v12, v25
	v_pk_mul_f16 v51, 0x3770b3a8, v10 op_sel_hi:[1,0]
	v_add_f16_e32 v4, v47, v4
	v_pk_fma_f16 v47, 0xb9fdb5ac, v27, v50 op_sel_hi:[1,0,1]
	v_pk_fma_f16 v50, 0xb5ac2fb7, v33, v53 op_sel_hi:[1,0,1] neg_lo:[0,0,1] neg_hi:[0,0,1]
	v_pk_add_f16 v49, v49, v52
	v_pk_fma_f16 v60, 0x2fb7b9fd, v26, v48 op_sel_hi:[1,0,1] neg_lo:[0,0,1] neg_hi:[0,0,1]
	v_add_f16_e32 v4, v46, v4
	v_pk_fma_f16 v46, 0xb9fdbbc4, v34, v54 op_sel_hi:[1,0,1] neg_lo:[0,0,1] neg_hi:[0,0,1]
	v_pk_add_f16 v25, v50, v35 op_sel_hi:[1,0]
	v_pk_add_f16 v49, v49, v59
	v_pk_mul_f16 v55, 0xbbf13770, v8 op_sel_hi:[1,0]
	v_add_f16_e32 v4, v45, v4
	v_pk_fma_f16 v45, 0x3b15b5ac, v7, v36 op_sel_hi:[1,0,1] neg_lo:[0,0,1] neg_hi:[0,0,1]
	v_pk_add_f16 v12, v12, v29
	v_pk_add_f16 v25, v25, v46
	;; [unrolled: 1-line block ×3, first 2 shown]
	v_add_f16_e32 v71, v44, v4
	v_pk_fma_f16 v4, 0x3b15bbc4, v70, v51 op_sel_hi:[1,0,1] neg_lo:[0,0,1] neg_hi:[0,0,1]
	v_pk_add_f16 v12, v12, v47
	v_pk_fma_f16 v44, 0x2fb7b9fd, v26, v48 op_sel_hi:[1,0,1]
	v_pk_add_f16 v25, v25, v45
	v_pk_fma_f16 v45, 0x2fb73b15, v27, v55 op_sel_hi:[1,0,1] neg_lo:[0,0,1] neg_hi:[0,0,1]
	v_pk_mul_f16 v46, 0x33a8ba95, v9 op_sel_hi:[1,0]
	v_pk_add_f16 v4, v29, v4
	v_pk_fma_f16 v29, 0xb5ac2fb7, v33, v53 op_sel_hi:[1,0,1]
	v_pk_add_f16 v12, v12, v44
	v_pk_add_f16 v25, v25, v45
	v_pk_fma_f16 v44, 0xbbc4388b, v26, v46 op_sel_hi:[1,0,1] neg_lo:[0,0,1] neg_hi:[0,0,1]
	v_pk_mul_f16 v32, 0xb3a8b94e, v32 op_sel_hi:[1,0]
	v_pk_add_f16 v29, v29, v35 op_sel_hi:[1,0]
	v_pk_fma_f16 v45, 0xb9fdbbc4, v34, v54 op_sel_hi:[1,0,1]
	v_pk_mul_f16 v5, 0x37703bf1, v5 op_sel_hi:[1,0]
	v_pk_add_f16 v73, v25, v44
	v_pk_fma_f16 v44, 0xbbc4b9fd, v33, v32 op_sel_hi:[1,0,1] neg_lo:[0,0,1] neg_hi:[0,0,1]
	v_pk_fma_f16 v32, 0xbbc4b9fd, v33, v32 op_sel_hi:[1,0,1]
	v_pk_add_f16 v29, v29, v45
	v_pk_fma_f16 v36, 0x3b15b5ac, v7, v36 op_sel_hi:[1,0,1]
	v_pk_fma_f16 v45, 0x3b152fb7, v34, v5 op_sel_hi:[1,0,1] neg_lo:[0,0,1] neg_hi:[0,0,1]
	v_pk_add_f16 v44, v44, v35 op_sel_hi:[1,0]
	v_pk_mul_f16 v6, 0xb94eba95, v6 op_sel_hi:[1,0]
	v_pk_add_f16 v32, v32, v35 op_sel_hi:[1,0]
	v_pk_fma_f16 v5, 0x3b152fb7, v34, v5 op_sel_hi:[1,0,1]
	v_pk_add_f16 v29, v29, v36
	v_pk_fma_f16 v36, 0x2fb73b15, v27, v55 op_sel_hi:[1,0,1]
	v_pk_add_f16 v33, v44, v45
	v_pk_fma_f16 v44, 0xb9fd388b, v7, v6 op_sel_hi:[1,0,1] neg_lo:[0,0,1] neg_hi:[0,0,1]
	v_pk_mul_f16 v8, 0x3a9533a8, v8 op_sel_hi:[1,0]
	v_pk_add_f16 v5, v32, v5
	v_pk_fma_f16 v6, 0xb9fd388b, v7, v6 op_sel_hi:[1,0,1]
	v_pk_add_f16 v29, v29, v36
	v_pk_fma_f16 v35, 0xbbc4388b, v26, v46 op_sel_hi:[1,0,1]
	v_pk_add_f16 v33, v33, v44
	v_pk_fma_f16 v34, 0x388bbbc4, v27, v8 op_sel_hi:[1,0,1] neg_lo:[0,0,1] neg_hi:[0,0,1]
	v_pk_add_f16 v5, v5, v6
	v_pk_fma_f16 v6, 0x388bbbc4, v27, v8 op_sel_hi:[1,0,1]
	v_pk_mul_f16 v9, 0xbb7b3770, v9 op_sel_hi:[1,0]
	v_pk_add_f16 v75, v29, v35
	v_lshlrev_b32_e32 v29, 1, v2
	v_mul_i32_i24_e32 v2, 0xffffffe8, v24
	v_pk_mul_f16 v25, 0x3a95b94e, v10 op_sel_hi:[1,0]
	v_pk_add_f16 v5, v5, v6
	v_lshlrev_b32_e32 v6, 1, v24
	v_pk_add_f16 v7, v33, v34
	v_pk_fma_f16 v32, 0xb5ac3b15, v26, v9 op_sel_hi:[1,0,1] neg_lo:[0,0,1] neg_hi:[0,0,1]
	v_pk_fma_f16 v9, 0xb5ac3b15, v26, v9 op_sel_hi:[1,0,1]
	v_add3_u32 v26, v1, v2, v29
	v_pk_fma_f16 v74, 0x388bb9fd, v70, v25 op_sel_hi:[1,0,1] neg_lo:[0,0,1] neg_hi:[0,0,1]
	v_pk_fma_f16 v76, 0x388bb9fd, v70, v25 op_sel_hi:[1,0,1]
	v_add3_u32 v25, 0, v29, v6
	v_pk_fma_f16 v72, 0x3b15bbc4, v70, v51 op_sel_hi:[1,0,1]
	v_pk_add_f16 v7, v7, v32
	global_wb scope:SCOPE_SE
	s_wait_dscnt 0x0
	s_wait_kmcnt 0x0
	s_barrier_signal -1
	s_barrier_wait -1
	global_inv scope:SCOPE_SE
	ds_load_u16 v56, v26 offset:780
	ds_load_u16 v44, v26 offset:910
	ds_load_u16 v36, v25
	ds_load_u16 v35, v26 offset:130
	ds_load_u16 v33, v26 offset:260
	;; [unrolled: 1-line block ×22, first 2 shown]
	v_pk_mul_f16 v8, 0x3bf1bb7b, v10 op_sel_hi:[1,0]
	v_pk_add_f16 v1, v5, v9
	v_pk_add_f16 v9, v75, v76
	v_add_nc_u32_e32 v27, 0x41, v24
	v_pk_add_f16 v5, v73, v74
	v_pk_fma_f16 v2, 0x2fb7b5ac, v70, v8 op_sel_hi:[1,0,1]
	v_pk_fma_f16 v6, 0x2fb7b5ac, v70, v8 op_sel_hi:[1,0,1] neg_lo:[0,0,1] neg_hi:[0,0,1]
	v_pk_add_f16 v8, v12, v72
	global_wb scope:SCOPE_SE
	s_wait_dscnt 0x0
	s_barrier_signal -1
	v_pk_add_f16 v1, v1, v2
	v_pk_add_f16 v6, v7, v6
	v_alignbit_b32 v2, v8, v8, 16
	s_barrier_wait -1
	global_inv scope:SCOPE_SE
	v_alignbit_b32 v7, v1, v1, 16
	v_alignbit_b32 v1, v9, v9, 16
	ds_store_b16 v0, v71
	ds_store_b128 v0, v[4:7] offset:2
	ds_store_b64 v0, v[1:2] offset:18
	s_and_saveexec_b32 s1, s0
	s_cbranch_execz .LBB0_19
; %bb.18:
	v_add_f16_e32 v0, v3, v67
	v_sub_f16_e32 v2, v39, v64
	v_add_f16_e32 v1, v67, v11
	v_sub_f16_e32 v5, v38, v61
	v_sub_f16_e32 v18, v18, v28
	v_add_f16_e32 v0, v0, v63
	v_pk_mul_f16 v28, 0xba95b770, v2 op_sel_hi:[1,0]
	v_add_f16_e32 v4, v63, v13
	v_sub_f16_e32 v7, v37, v43
	v_sub_f16_e32 v9, v31, v42
	v_add_f16_e32 v0, v0, v62
	v_add_f16_e32 v10, v40, v16
	v_pk_mul_f16 v31, 0xbb7bba95, v5 op_sel_hi:[1,0]
	v_add_f16_e32 v6, v62, v14
	v_add_f16_e32 v8, v57, v15
	;; [unrolled: 1-line block ×3, first 2 shown]
	v_pk_mul_f16 v37, 0xb3a8bbf1, v7 op_sel_hi:[1,0]
	v_pk_fma_f16 v57, 0xb5ac388b, v4, v31 op_sel_hi:[1,0,1] neg_lo:[0,0,1] neg_hi:[0,0,1]
	v_pk_fma_f16 v31, 0xb5ac388b, v4, v31 op_sel_hi:[1,0,1]
	v_sub_f16_e32 v12, v19, v41
	v_add_f16_e32 v0, v0, v40
	v_pk_mul_f16 v38, 0x394ebb7b, v9 op_sel_hi:[1,0]
	v_pk_fma_f16 v43, 0x388b3b15, v1, v28 op_sel_hi:[1,0,1] neg_lo:[0,0,1] neg_hi:[0,0,1]
	v_pk_fma_f16 v61, 0xbbc42fb7, v6, v37 op_sel_hi:[1,0,1] neg_lo:[0,0,1] neg_hi:[0,0,1]
	v_pk_fma_f16 v37, 0xbbc42fb7, v6, v37 op_sel_hi:[1,0,1]
	v_add_f16_e32 v0, v0, v30
	v_pk_mul_f16 v39, 0x3bf1b94e, v12 op_sel_hi:[1,0]
	v_pk_mul_f16 v41, 0xbb7bbbf1, v2 op_sel_hi:[1,0]
	v_pk_add_f16 v43, v3, v43 op_sel_hi:[0,1]
	v_add_f16_e32 v19, v30, v17
	v_add_f16_e32 v0, v0, v17
	v_pk_mul_f16 v40, 0x3770b3a8, v18 op_sel_hi:[1,0]
	v_pk_mul_f16 v42, 0x394eb3a8, v5 op_sel_hi:[1,0]
	v_pk_mul_f16 v30, 0x37703b7b, v7 op_sel_hi:[1,0]
	v_pk_fma_f16 v17, 0xb9fdb5ac, v8, v38 op_sel_hi:[1,0,1] neg_lo:[0,0,1] neg_hi:[0,0,1]
	v_add_f16_e32 v0, v16, v0
	v_pk_fma_f16 v16, 0x388b3b15, v1, v28 op_sel_hi:[1,0,1]
	v_pk_add_f16 v28, v43, v57
	v_pk_mul_f16 v2, 0xb3a8b94e, v2 op_sel_hi:[1,0]
	v_pk_mul_f16 v5, 0x37703bf1, v5 op_sel_hi:[1,0]
	v_add_f16_e32 v0, v15, v0
	v_pk_add_f16 v16, v3, v16 op_sel_hi:[0,1]
	v_pk_fma_f16 v15, 0xb9fdb5ac, v8, v38 op_sel_hi:[1,0,1]
	v_pk_add_f16 v28, v28, v61
	v_pk_fma_f16 v38, 0xb5ac2fb7, v1, v41 op_sel_hi:[1,0,1] neg_lo:[0,0,1] neg_hi:[0,0,1]
	v_add_f16_e32 v0, v14, v0
	v_pk_add_f16 v16, v16, v31
	v_pk_fma_f16 v31, 0xb5ac2fb7, v1, v41 op_sel_hi:[1,0,1]
	v_pk_fma_f16 v14, 0xb9fdbbc4, v4, v42 op_sel_hi:[1,0,1] neg_lo:[0,0,1] neg_hi:[0,0,1]
	v_pk_add_f16 v17, v28, v17
	v_pk_add_f16 v28, v3, v38 op_sel_hi:[0,1]
	v_pk_add_f16 v16, v16, v37
	v_pk_add_f16 v31, v3, v31 op_sel_hi:[0,1]
	v_pk_fma_f16 v37, 0xb9fdbbc4, v4, v42 op_sel_hi:[1,0,1]
	v_add_f16_e32 v0, v13, v0
	v_pk_fma_f16 v13, 0x3b15b5ac, v6, v30 op_sel_hi:[1,0,1] neg_lo:[0,0,1] neg_hi:[0,0,1]
	v_pk_add_f16 v15, v16, v15
	v_pk_fma_f16 v16, 0x2fb7b9fd, v10, v39 op_sel_hi:[1,0,1]
	v_pk_fma_f16 v30, 0x3b15b5ac, v6, v30 op_sel_hi:[1,0,1]
	v_pk_fma_f16 v62, 0x2fb7b9fd, v10, v39 op_sel_hi:[1,0,1] neg_lo:[0,0,1] neg_hi:[0,0,1]
	v_pk_add_f16 v14, v28, v14
	v_pk_mul_f16 v28, 0xbbf13770, v9 op_sel_hi:[1,0]
	v_pk_add_f16 v15, v15, v16
	v_pk_fma_f16 v16, 0x3b15bbc4, v19, v40 op_sel_hi:[1,0,1]
	v_pk_mul_f16 v7, 0xb94eba95, v7 op_sel_hi:[1,0]
	v_pk_fma_f16 v63, 0x3b15bbc4, v19, v40 op_sel_hi:[1,0,1] neg_lo:[0,0,1] neg_hi:[0,0,1]
	v_pk_add_f16 v17, v17, v62
	v_pk_mul_f16 v9, 0x3a9533a8, v9 op_sel_hi:[1,0]
	v_pk_add_f16 v15, v15, v16
	v_pk_add_f16 v16, v31, v37
	v_pk_fma_f16 v31, 0xbbc4b9fd, v1, v2 op_sel_hi:[1,0,1]
	v_pk_fma_f16 v1, 0xbbc4b9fd, v1, v2 op_sel_hi:[1,0,1] neg_lo:[0,0,1] neg_hi:[0,0,1]
	v_add_f16_e32 v11, v11, v0
	v_pk_add_f16 v0, v17, v63
	v_pk_add_f16 v2, v16, v30
	v_pk_add_f16 v16, v3, v31 op_sel_hi:[0,1]
	v_pk_fma_f16 v30, 0x3b152fb7, v4, v5 op_sel_hi:[1,0,1]
	v_pk_add_f16 v1, v3, v1 op_sel_hi:[0,1]
	v_pk_fma_f16 v3, 0x3b152fb7, v4, v5 op_sel_hi:[1,0,1] neg_lo:[0,0,1] neg_hi:[0,0,1]
	v_pk_fma_f16 v4, 0x2fb73b15, v8, v28 op_sel_hi:[1,0,1]
	v_pk_add_f16 v13, v14, v13
	v_pk_add_f16 v5, v16, v30
	v_pk_fma_f16 v16, 0xb9fd388b, v6, v7 op_sel_hi:[1,0,1]
	v_pk_fma_f16 v14, 0x2fb73b15, v8, v28 op_sel_hi:[1,0,1] neg_lo:[0,0,1] neg_hi:[0,0,1]
	v_pk_mul_f16 v17, 0x33a8ba95, v12 op_sel_hi:[1,0]
	v_pk_add_f16 v1, v1, v3
	v_pk_fma_f16 v3, 0xb9fd388b, v6, v7 op_sel_hi:[1,0,1] neg_lo:[0,0,1] neg_hi:[0,0,1]
	v_pk_add_f16 v2, v2, v4
	v_pk_add_f16 v4, v5, v16
	v_pk_fma_f16 v5, 0x388bbbc4, v8, v9 op_sel_hi:[1,0,1]
	v_pk_mul_f16 v6, 0xbb7b3770, v12 op_sel_hi:[1,0]
	v_pk_add_f16 v13, v13, v14
	v_pk_fma_f16 v14, 0xbbc4388b, v10, v17 op_sel_hi:[1,0,1] neg_lo:[0,0,1] neg_hi:[0,0,1]
	v_pk_add_f16 v1, v1, v3
	v_pk_fma_f16 v3, 0x388bbbc4, v8, v9 op_sel_hi:[1,0,1] neg_lo:[0,0,1] neg_hi:[0,0,1]
	v_pk_add_f16 v4, v4, v5
	v_pk_fma_f16 v5, 0xb5ac3b15, v10, v6 op_sel_hi:[1,0,1]
	v_pk_mul_f16 v8, 0x3bf1bb7b, v18 op_sel_hi:[1,0]
	v_pk_add_f16 v13, v13, v14
	v_pk_mul_f16 v14, 0x3a95b94e, v18 op_sel_hi:[1,0]
	v_pk_fma_f16 v7, 0xbbc4388b, v10, v17 op_sel_hi:[1,0,1]
	v_pk_add_f16 v1, v1, v3
	v_pk_fma_f16 v3, 0xb5ac3b15, v10, v6 op_sel_hi:[1,0,1] neg_lo:[0,0,1] neg_hi:[0,0,1]
	v_pk_add_f16 v4, v4, v5
	v_pk_fma_f16 v5, 0x2fb7b5ac, v19, v8 op_sel_hi:[1,0,1]
	v_pk_add_f16 v2, v2, v7
	v_pk_fma_f16 v6, 0x388bb9fd, v19, v14 op_sel_hi:[1,0,1]
	v_pk_fma_f16 v7, 0x2fb7b5ac, v19, v8 op_sel_hi:[1,0,1] neg_lo:[0,0,1] neg_hi:[0,0,1]
	v_mul_u32_u24_e32 v8, 26, v27
	v_pk_fma_f16 v37, 0x388bb9fd, v19, v14 op_sel_hi:[1,0,1] neg_lo:[0,0,1] neg_hi:[0,0,1]
	v_pk_add_f16 v3, v1, v3
	v_pk_add_f16 v4, v4, v5
	;; [unrolled: 1-line block ×3, first 2 shown]
	v_add3_u32 v6, 0, v8, v29
	v_pk_add_f16 v1, v13, v37
	v_pk_add_f16 v2, v3, v7
	v_alignbit_b32 v3, v4, v4, 16
	v_alignbit_b32 v4, v5, v5, 16
	;; [unrolled: 1-line block ×3, first 2 shown]
	ds_store_b16 v6, v11
	ds_store_b128 v6, v[0:3] offset:2
	ds_store_b64 v6, v[4:5] offset:18
.LBB0_19:
	s_wait_alu 0xfffe
	s_or_b32 exec_lo, exec_lo, s1
	v_and_b32_e32 v0, 0xff, v24
	v_and_b32_e32 v1, 0xff, v27
	v_add_nc_u32_e32 v28, 0x82, v24
	v_add_nc_u32_e32 v30, 0xc3, v24
	;; [unrolled: 1-line block ×3, first 2 shown]
	v_mul_lo_u16 v0, 0x4f, v0
	v_mul_lo_u16 v1, 0x4f, v1
	v_and_b32_e32 v37, 0xff, v28
	v_and_b32_e32 v39, 0xffff, v30
	;; [unrolled: 1-line block ×3, first 2 shown]
	v_lshrrev_b16 v41, 10, v0
	v_lshrrev_b16 v40, 10, v1
	global_wb scope:SCOPE_SE
	s_wait_dscnt 0x0
	v_mul_u32_u24_e32 v2, 0x4ec5, v39
	s_barrier_signal -1
	v_mul_lo_u16 v0, v41, 13
	v_mul_lo_u16 v1, v40, 13
	s_barrier_wait -1
	global_inv scope:SCOPE_SE
	v_lshrrev_b32_e32 v61, 18, v2
	v_sub_nc_u16 v0, v24, v0
	v_sub_nc_u16 v1, v27, v1
	s_delay_alu instid0(VALU_DEP_2) | instskip(SKIP_1) | instid1(VALU_DEP_3)
	v_and_b32_e32 v42, 0xff, v0
	v_mul_lo_u16 v0, 0x4f, v37
	v_and_b32_e32 v63, 0xff, v1
	s_delay_alu instid0(VALU_DEP_3) | instskip(NEXT) | instid1(VALU_DEP_3)
	v_lshlrev_b32_e32 v1, 4, v42
	v_lshrrev_b16 v64, 10, v0
	s_delay_alu instid0(VALU_DEP_3)
	v_lshlrev_b32_e32 v0, 4, v63
	global_load_b128 v[12:15], v1, s[8:9]
	v_mul_lo_u16 v2, v64, 13
	global_load_b128 v[16:19], v0, s[8:9]
	v_mul_u32_u24_e32 v1, 0x4ec5, v38
	v_mul_lo_u16 v0, v61, 13
	s_delay_alu instid0(VALU_DEP_2) | instskip(SKIP_1) | instid1(VALU_DEP_3)
	v_lshrrev_b32_e32 v57, 18, v1
	v_sub_nc_u16 v1, v28, v2
	v_sub_nc_u16 v0, v30, v0
	s_delay_alu instid0(VALU_DEP_3) | instskip(NEXT) | instid1(VALU_DEP_3)
	v_mul_lo_u16 v2, v57, 13
	v_and_b32_e32 v70, 0xff, v1
	s_delay_alu instid0(VALU_DEP_3) | instskip(NEXT) | instid1(VALU_DEP_3)
	v_and_b32_e32 v67, 0xffff, v0
	v_sub_nc_u16 v1, v31, v2
	s_delay_alu instid0(VALU_DEP_3) | instskip(NEXT) | instid1(VALU_DEP_2)
	v_lshlrev_b32_e32 v0, 4, v70
	v_and_b32_e32 v62, 0xffff, v1
	s_delay_alu instid0(VALU_DEP_4)
	v_lshlrev_b32_e32 v1, 4, v67
	global_load_b128 v[8:11], v0, s[8:9]
	v_lshlrev_b32_e32 v0, 4, v62
	s_clause 0x1
	global_load_b128 v[4:7], v1, s[8:9]
	global_load_b128 v[0:3], v0, s[8:9]
	ds_load_u16 v83, v26 offset:650
	ds_load_u16 v82, v26 offset:780
	;; [unrolled: 1-line block ×20, first 2 shown]
	ds_load_u16 v71, v25
	ds_load_u16 v43, v26 offset:130
	ds_load_u16 v72, v26 offset:260
	ds_load_u16 v73, v26 offset:390
	ds_load_u16 v74, v26 offset:520
	global_wb scope:SCOPE_SE
	s_wait_loadcnt_dscnt 0x0
	s_barrier_signal -1
	s_barrier_wait -1
	global_inv scope:SCOPE_SE
	v_lshrrev_b32_e32 v95, 16, v12
	v_lshrrev_b32_e32 v96, 16, v13
	;; [unrolled: 1-line block ×8, first 2 shown]
	v_mul_f16_e32 v103, v83, v95
	v_mul_f16_e32 v95, v68, v95
	;; [unrolled: 1-line block ×16, first 2 shown]
	v_fmac_f16_e32 v103, v68, v12
	v_lshrrev_b32_e32 v111, 16, v8
	v_lshrrev_b32_e32 v112, 16, v9
	;; [unrolled: 1-line block ×4, first 2 shown]
	v_fma_f16 v12, v83, v12, -v95
	v_fmac_f16_e32 v104, v69, v13
	v_lshrrev_b32_e32 v115, 16, v4
	v_lshrrev_b32_e32 v116, 16, v5
	;; [unrolled: 1-line block ×8, first 2 shown]
	v_fma_f16 v13, v93, v13, -v96
	v_fmac_f16_e32 v105, v65, v14
	v_fma_f16 v14, v91, v14, -v97
	v_fmac_f16_e32 v106, v66, v15
	;; [unrolled: 2-line block ×6, first 2 shown]
	v_fma_f16 v19, v85, v19, -v102
	v_mul_f16_e32 v56, v76, v111
	v_mul_f16_e32 v58, v44, v111
	v_mul_f16_e32 v59, v78, v112
	v_mul_f16_e32 v60, v52, v112
	v_mul_f16_e32 v65, v88, v113
	v_mul_f16_e32 v66, v54, v113
	v_mul_f16_e32 v82, v79, v114
	v_mul_f16_e32 v84, v55, v114
	v_mul_f16_e32 v85, v75, v115
	v_mul_f16_e32 v91, v45, v115
	v_mul_f16_e32 v92, v77, v116
	v_mul_f16_e32 v93, v46, v116
	v_mul_f16_e32 v94, v90, v117
	v_mul_f16_e32 v95, v47, v117
	v_mul_f16_e32 v96, v80, v118
	v_mul_f16_e32 v97, v48, v118
	v_mul_f16_e32 v98, v86, v119
	v_mul_f16_e32 v99, v53, v119
	v_mul_f16_e32 v100, v81, v68
	v_mul_f16_e32 v68, v49, v68
	v_mul_f16_e32 v101, v87, v83
	v_mul_f16_e32 v83, v51, v83
	v_mul_f16_e32 v102, v89, v69
	v_mul_f16_e32 v69, v50, v69
	v_fmac_f16_e32 v56, v44, v8
	v_fma_f16 v8, v76, v8, -v58
	v_fmac_f16_e32 v59, v52, v9
	v_fma_f16 v9, v78, v9, -v60
	;; [unrolled: 2-line block ×12, first 2 shown]
	v_add_f16_e32 v0, v36, v103
	v_add_f16_e32 v2, v104, v105
	v_sub_f16_e32 v47, v103, v104
	v_sub_f16_e32 v48, v106, v105
	v_add_f16_e32 v49, v103, v106
	v_sub_f16_e32 v50, v104, v103
	v_sub_f16_e32 v51, v105, v106
	v_add_f16_e32 v52, v71, v12
	v_add_f16_e32 v53, v13, v14
	v_sub_f16_e32 v55, v12, v13
	v_sub_f16_e32 v58, v15, v14
	v_add_f16_e32 v60, v12, v15
	v_sub_f16_e32 v66, v13, v12
	v_sub_f16_e32 v68, v14, v15
	;; [unrolled: 7-line block ×3, first 2 shown]
	v_add_f16_e32 v81, v17, v18
	v_sub_f16_e32 v83, v16, v17
	v_sub_f16_e32 v84, v19, v18
	v_add_f16_e32 v86, v16, v19
	v_add_f16_e32 v87, v43, v16
	v_sub_f16_e32 v88, v17, v16
	v_sub_f16_e32 v89, v18, v19
	v_sub_f16_e32 v46, v13, v14
	v_sub_f16_e32 v54, v104, v105
	v_sub_f16_e32 v90, v17, v18
	v_sub_f16_e32 v93, v103, v106
	v_sub_f16_e32 v12, v12, v15
	v_sub_f16_e32 v95, v107, v110
	v_add_f16_e32 v97, v0, v104
	v_add_f16_e32 v47, v47, v48
	v_fma_f16 v48, -0.5, v2, v36
	v_fmac_f16_e32 v36, -0.5, v49
	v_add_f16_e32 v49, v50, v51
	v_add_f16_e32 v2, v52, v13
	;; [unrolled: 1-line block ×3, first 2 shown]
	v_fma_f16 v50, -0.5, v53, v71
	v_fmac_f16_e32 v71, -0.5, v60
	v_add_f16_e32 v51, v66, v68
	v_add_f16_e32 v52, v76, v77
	v_fma_f16 v53, -0.5, v75, v35
	v_fmac_f16_e32 v35, -0.5, v78
	v_add_f16_e32 v55, v79, v80
	v_add_f16_e32 v58, v83, v84
	;; [unrolled: 4-line block ×3, first 2 shown]
	v_add_f16_e32 v66, v88, v89
	v_add_f16_e32 v68, v59, v65
	;; [unrolled: 1-line block ×4, first 2 shown]
	v_sub_f16_e32 v78, v59, v56
	v_sub_f16_e32 v79, v65, v82
	;; [unrolled: 1-line block ×4, first 2 shown]
	v_add_f16_e32 v83, v9, v10
	v_add_f16_e32 v84, v8, v11
	;; [unrolled: 1-line block ×3, first 2 shown]
	v_sub_f16_e32 v87, v9, v8
	v_sub_f16_e32 v88, v10, v11
	;; [unrolled: 1-line block ×4, first 2 shown]
	v_add_f16_e32 v103, v92, v94
	v_add_f16_e32 v104, v85, v96
	;; [unrolled: 1-line block ×3, first 2 shown]
	v_sub_f16_e32 v112, v4, v5
	v_sub_f16_e32 v113, v7, v6
	v_add_f16_e32 v116, v73, v4
	v_sub_f16_e32 v91, v108, v109
	v_sub_f16_e32 v16, v16, v19
	v_sub_f16_e32 v69, v56, v59
	v_sub_f16_e32 v108, v92, v85
	v_sub_f16_e32 v111, v94, v96
	v_add_f16_e32 v114, v5, v6
	v_sub_f16_e32 v117, v5, v4
	v_sub_f16_e32 v119, v59, v65
	v_add_f16_e32 v97, v97, v105
	v_sub_f16_e32 v105, v9, v10
	v_add_f16_e32 v14, v2, v14
	v_add_f16_e32 v60, v60, v109
	v_sub_f16_e32 v109, v5, v6
	v_add_f16_e32 v17, v17, v18
	v_add_f16_e32 v18, v100, v101
	v_fma_f16 v68, -0.5, v68, v33
	v_fmac_f16_e32 v33, -0.5, v76
	v_add_f16_e32 v78, v78, v79
	v_add_f16_e32 v79, v80, v81
	v_fma_f16 v80, -0.5, v83, v72
	v_fmac_f16_e32 v72, -0.5, v84
	;; [unrolled: 4-line block ×3, first 2 shown]
	v_add_f16_e32 v88, v112, v113
	v_fmamk_f16 v99, v12, 0xbb9c, v48
	v_fmac_f16_e32 v48, 0x3b9c, v12
	v_fmamk_f16 v103, v46, 0x3b9c, v36
	v_fmac_f16_e32 v36, 0xbb9c, v46
	;; [unrolled: 2-line block ×4, first 2 shown]
	v_add_f16_e32 v59, v77, v59
	v_add_f16_e32 v9, v86, v9
	;; [unrolled: 1-line block ×4, first 2 shown]
	v_sub_f16_e32 v8, v8, v11
	v_sub_f16_e32 v76, v44, v3
	v_add_f16_e32 v87, v108, v111
	v_fmamk_f16 v111, v16, 0xbb9c, v53
	v_fmac_f16_e32 v53, 0x3b9c, v16
	v_fma_f16 v18, -0.5, v18, v34
	v_fmac_f16_e32 v99, 0xb8b4, v46
	v_fmac_f16_e32 v48, 0x38b4, v46
	;; [unrolled: 1-line block ×4, first 2 shown]
	v_add_f16_e32 v12, v14, v15
	v_fmac_f16_e32 v104, 0x38b4, v54
	v_fmac_f16_e32 v50, 0xb8b4, v54
	;; [unrolled: 1-line block ×4, first 2 shown]
	v_add_f16_e32 v15, v17, v19
	v_add_f16_e32 v16, v59, v65
	;; [unrolled: 1-line block ×5, first 2 shown]
	v_fmamk_f16 v17, v105, 0x3b9c, v33
	v_fmac_f16_e32 v33, 0xbb9c, v105
	v_sub_f16_e32 v75, v82, v65
	v_add_f16_e32 v115, v4, v7
	v_sub_f16_e32 v118, v6, v7
	v_sub_f16_e32 v4, v4, v7
	v_fmamk_f16 v6, v8, 0xbb9c, v68
	v_fmac_f16_e32 v68, 0x3b9c, v8
	v_fmac_f16_e32 v99, 0x34f2, v47
	;; [unrolled: 1-line block ×5, first 2 shown]
	v_add_f16_e32 v13, v16, v82
	v_fmac_f16_e32 v17, 0xb8b4, v8
	v_fmac_f16_e32 v33, 0x38b4, v8
	v_add_f16_e32 v9, v9, v11
	v_add_f16_e32 v8, v10, v96
	;; [unrolled: 1-line block ×3, first 2 shown]
	v_fmamk_f16 v5, v76, 0xbb9c, v18
	v_sub_f16_e32 v7, v1, v45
	v_sub_f16_e32 v11, v98, v100
	;; [unrolled: 1-line block ×3, first 2 shown]
	v_fmac_f16_e32 v18, 0x3b9c, v76
	v_add_f16_e32 v47, v98, v102
	v_add_f16_e32 v69, v69, v75
	;; [unrolled: 1-line block ×3, first 2 shown]
	v_fmac_f16_e32 v111, 0xb8b4, v90
	v_fmac_f16_e32 v53, 0x38b4, v90
	;; [unrolled: 1-line block ×3, first 2 shown]
	v_add_f16_e32 v11, v11, v16
	v_fmac_f16_e32 v18, 0x38b4, v7
	v_fmac_f16_e32 v34, -0.5, v47
	v_fmamk_f16 v108, v54, 0xbb9c, v71
	v_fmac_f16_e32 v71, 0x3b9c, v54
	v_fmac_f16_e32 v103, 0x34f2, v49
	;; [unrolled: 1-line block ×7, first 2 shown]
	v_fmamk_f16 v11, v7, 0x3b9c, v34
	v_add_f16_e32 v16, v1, v45
	v_sub_f16_e32 v47, v100, v98
	v_sub_f16_e32 v49, v101, v102
	v_fmac_f16_e32 v34, 0xbb9c, v7
	v_add_f16_e32 v52, v44, v3
	v_sub_f16_e32 v56, v56, v82
	v_fmac_f16_e32 v108, 0x38b4, v93
	v_fmac_f16_e32 v71, 0xb8b4, v93
	v_fmamk_f16 v46, v119, 0xbb9c, v72
	v_fmac_f16_e32 v72, 0x3b9c, v119
	v_fmac_f16_e32 v112, 0x34f2, v55
	;; [unrolled: 1-line block ×3, first 2 shown]
	v_add_f16_e32 v7, v74, v44
	v_fma_f16 v16, -0.5, v16, v74
	v_fmac_f16_e32 v11, 0xb8b4, v76
	v_add_f16_e32 v47, v47, v49
	v_fmac_f16_e32 v34, 0x38b4, v76
	v_sub_f16_e32 v55, v100, v101
	v_fmac_f16_e32 v74, -0.5, v52
	v_fmamk_f16 v19, v56, 0x3b9c, v80
	v_fmac_f16_e32 v80, 0xbb9c, v56
	v_fmac_f16_e32 v108, 0x34f2, v51
	;; [unrolled: 1-line block ×5, first 2 shown]
	v_sub_f16_e32 v51, v98, v102
	v_add_f16_e32 v7, v7, v1
	v_fmac_f16_e32 v11, 0x34f2, v47
	v_fmac_f16_e32 v34, 0x34f2, v47
	v_sub_f16_e32 v47, v44, v1
	v_fmamk_f16 v56, v55, 0xbb9c, v74
	v_sub_f16_e32 v1, v1, v44
	v_sub_f16_e32 v44, v45, v3
	v_fmac_f16_e32 v74, 0x3b9c, v55
	v_add_f16_e32 v7, v7, v45
	v_fmac_f16_e32 v56, 0x38b4, v51
	v_sub_f16_e32 v52, v3, v45
	v_add_f16_e32 v1, v1, v44
	v_fmac_f16_e32 v74, 0xb8b4, v51
	v_add_f16_e32 v44, v7, v3
	v_and_b32_e32 v3, 0xffff, v41
	v_lshlrev_b32_e32 v7, 1, v42
	v_fmac_f16_e32 v56, 0x34f2, v1
	v_fmac_f16_e32 v74, 0x34f2, v1
	v_and_b32_e32 v1, 0xffff, v40
	v_mad_u32_u24 v3, 0x82, v3, 0
	v_lshlrev_b32_e32 v40, 1, v63
	v_and_b32_e32 v41, 0xffff, v64
	v_fmamk_f16 v59, v109, 0x3b9c, v32
	v_mad_u32_u24 v1, 0x82, v1, 0
	v_fmac_f16_e32 v32, 0xbb9c, v109
	v_add_f16_e32 v86, v97, v106
	v_add3_u32 v3, v3, v7, v29
	v_mad_u32_u24 v7, 0x82, v41, 0
	v_add3_u32 v1, v1, v40, v29
	v_lshlrev_b32_e32 v40, 1, v70
	v_sub_f16_e32 v85, v85, v96
	v_fma_f16 v2, -0.5, v114, v73
	v_fmamk_f16 v54, v4, 0xbb9c, v84
	v_sub_f16_e32 v120, v92, v94
	v_fmac_f16_e32 v73, -0.5, v115
	v_fmamk_f16 v113, v95, 0x3b9c, v0
	v_fmac_f16_e32 v0, 0xbb9c, v95
	v_fmac_f16_e32 v84, 0x3b9c, v4
	;; [unrolled: 1-line block ×4, first 2 shown]
	v_add_f16_e32 v4, v75, v100
	v_fmamk_f16 v114, v91, 0xbb9c, v43
	v_fmac_f16_e32 v43, 0x3b9c, v91
	v_add_f16_e32 v14, v60, v110
	ds_store_b16 v3, v86
	ds_store_b16 v3, v99 offset:26
	ds_store_b16 v3, v103 offset:52
	;; [unrolled: 1-line block ×4, first 2 shown]
	v_add3_u32 v36, v7, v40, v29
	v_mad_u32_u24 v7, 0x82, v61, 0
	v_lshlrev_b32_e32 v40, 1, v67
	v_fmamk_f16 v60, v85, 0x3b9c, v2
	v_fmac_f16_e32 v6, 0xb8b4, v105
	v_fmac_f16_e32 v54, 0xb8b4, v109
	v_fmamk_f16 v65, v120, 0xbb9c, v73
	v_fmac_f16_e32 v73, 0x3b9c, v120
	v_fmac_f16_e32 v0, 0xb8b4, v91
	;; [unrolled: 1-line block ×5, first 2 shown]
	v_add_f16_e32 v4, v4, v101
	v_fmac_f16_e32 v113, 0x38b4, v91
	v_fmac_f16_e32 v114, 0x38b4, v95
	;; [unrolled: 1-line block ×5, first 2 shown]
	v_fmamk_f16 v49, v51, 0x3b9c, v16
	v_fmac_f16_e32 v16, 0xbb9c, v51
	ds_store_b16 v1, v14
	ds_store_b16 v1, v111 offset:26
	ds_store_b16 v1, v112 offset:52
	;; [unrolled: 1-line block ×4, first 2 shown]
	v_add3_u32 v14, v7, v40, v29
	v_mad_u32_u24 v7, 0x82, v57, 0
	v_lshlrev_b32_e32 v35, 1, v62
	v_fmac_f16_e32 v60, 0x38b4, v120
	v_fmac_f16_e32 v6, 0x34f2, v69
	;; [unrolled: 1-line block ×3, first 2 shown]
	v_add_f16_e32 v89, v117, v118
	v_fmac_f16_e32 v65, 0x38b4, v85
	v_fmac_f16_e32 v17, 0x34f2, v78
	;; [unrolled: 1-line block ×10, first 2 shown]
	v_add_f16_e32 v4, v4, v102
	v_fmac_f16_e32 v113, 0x34f2, v58
	v_fmac_f16_e32 v114, 0x34f2, v66
	;; [unrolled: 1-line block ×8, first 2 shown]
	v_add_f16_e32 v45, v47, v52
	v_fmac_f16_e32 v16, 0xb8b4, v55
	ds_store_b16 v36, v13
	ds_store_b16 v36, v6 offset:26
	ds_store_b16 v36, v17 offset:52
	;; [unrolled: 1-line block ×4, first 2 shown]
	v_add3_u32 v13, v7, v35, v29
	ds_store_b16 v14, v8
	ds_store_b16 v14, v54 offset:26
	ds_store_b16 v14, v59 offset:52
	;; [unrolled: 1-line block ×4, first 2 shown]
	ds_store_b16 v13, v4
	ds_store_b16 v13, v5 offset:26
	ds_store_b16 v13, v11 offset:52
	;; [unrolled: 1-line block ×4, first 2 shown]
	global_wb scope:SCOPE_SE
	s_wait_dscnt 0x0
	s_barrier_signal -1
	s_barrier_wait -1
	global_inv scope:SCOPE_SE
	ds_load_u16 v32, v26 offset:910
	ds_load_u16 v8, v25
	ds_load_u16 v6, v26 offset:130
	ds_load_u16 v5, v26 offset:260
	;; [unrolled: 1-line block ×23, first 2 shown]
	global_wb scope:SCOPE_SE
	s_wait_dscnt 0x0
	s_barrier_signal -1
	s_barrier_wait -1
	global_inv scope:SCOPE_SE
	ds_store_b16 v3, v12
	ds_store_b16 v3, v104 offset:26
	ds_store_b16 v3, v108 offset:52
	ds_store_b16 v3, v71 offset:78
	ds_store_b16 v3, v50 offset:104
	ds_store_b16 v1, v15
	ds_store_b16 v1, v113 offset:26
	ds_store_b16 v1, v114 offset:52
	ds_store_b16 v1, v43 offset:78
	ds_store_b16 v1, v0 offset:104
	;; [unrolled: 5-line block ×3, first 2 shown]
	v_dual_mov_b32 v1, 0 :: v_dual_lshlrev_b32 v0, 2, v24
	v_mul_lo_u16 v9, 0xfd, v37
	v_fmac_f16_e32 v60, 0x34f2, v88
	v_fmac_f16_e32 v65, 0x34f2, v89
	;; [unrolled: 1-line block ×4, first 2 shown]
	ds_store_b16 v14, v10
	ds_store_b16 v14, v60 offset:26
	ds_store_b16 v14, v65 offset:52
	;; [unrolled: 1-line block ×4, first 2 shown]
	v_lshlrev_b64_e32 v[2:3], 2, v[0:1]
	v_lshrrev_b16 v0, 14, v9
	v_mul_u32_u24_e32 v9, 0xfc1, v39
	v_mul_u32_u24_e32 v10, 0xfc1, v38
	v_fmac_f16_e32 v49, 0x34f2, v45
	v_fmac_f16_e32 v16, 0x34f2, v45
	v_mul_lo_u16 v0, 0x41, v0
	v_lshrrev_b32_e32 v9, 18, v9
	v_lshrrev_b32_e32 v10, 18, v10
	v_add_co_u32 v2, s0, s8, v2
	s_delay_alu instid0(VALU_DEP_4) | instskip(NEXT) | instid1(VALU_DEP_4)
	v_sub_nc_u16 v0, v28, v0
	v_mul_lo_u16 v9, 0x41, v9
	s_delay_alu instid0(VALU_DEP_4)
	v_mul_lo_u16 v10, 0x41, v10
	s_wait_alu 0xf1ff
	v_add_co_ci_u32_e64 v3, s0, s9, v3, s0
	v_and_b32_e32 v15, 0xff, v0
	v_sub_nc_u16 v9, v30, v9
	v_sub_nc_u16 v0, v31, v10
	ds_store_b16 v13, v44
	ds_store_b16 v13, v49 offset:26
	ds_store_b16 v13, v56 offset:52
	;; [unrolled: 1-line block ×4, first 2 shown]
	global_wb scope:SCOPE_SE
	s_wait_dscnt 0x0
	s_barrier_signal -1
	v_and_b32_e32 v14, 0xffff, v9
	v_lshlrev_b32_e32 v9, 4, v15
	v_and_b32_e32 v13, 0xffff, v0
	s_barrier_wait -1
	global_inv scope:SCOPE_SE
	s_clause 0x1
	global_load_b128 v[36:39], v[2:3], off offset:208
	global_load_b128 v[40:43], v9, s[8:9] offset:208
	v_lshlrev_b32_e32 v0, 4, v14
	v_lshlrev_b32_e32 v9, 4, v13
	s_clause 0x1
	global_load_b128 v[44:47], v0, s[8:9] offset:208
	global_load_b128 v[48:51], v9, s[8:9] offset:208
	ds_load_u16 v19, v26 offset:780
	ds_load_u16 v56, v26 offset:910
	ds_load_u16 v11, v25
	ds_load_u16 v10, v26 offset:130
	ds_load_u16 v9, v26 offset:260
	;; [unrolled: 1-line block ×22, first 2 shown]
	v_lshlrev_b32_e32 v15, 1, v15
	global_wb scope:SCOPE_SE
	s_wait_loadcnt_dscnt 0x0
	s_barrier_signal -1
	s_barrier_wait -1
	global_inv scope:SCOPE_SE
	v_lshlrev_b32_e32 v13, 1, v13
	v_lshrrev_b32_e32 v18, 16, v36
	v_lshrrev_b32_e32 v85, 16, v37
	v_lshrrev_b32_e32 v86, 16, v38
	v_lshrrev_b32_e32 v87, 16, v39
	v_lshrrev_b32_e32 v88, 16, v40
	v_mul_f16_e32 v100, v16, v18
	v_lshrrev_b32_e32 v92, 16, v44
	v_lshrrev_b32_e32 v97, 16, v49
	v_mul_f16_e32 v101, v17, v18
	v_mul_f16_e32 v102, v80, v85
	;; [unrolled: 1-line block ×4, first 2 shown]
	v_lshrrev_b32_e32 v91, 16, v43
	v_lshrrev_b32_e32 v96, 16, v48
	v_mul_f16_e32 v103, v63, v85
	v_mul_f16_e32 v105, v35, v86
	v_mul_f16_e32 v108, v19, v18
	v_mul_f16_e32 v109, v59, v18
	v_mul_f16_e32 v111, v72, v86
	v_mul_f16_e32 v117, v60, v92
	v_mul_f16_e32 v92, v33, v92
	v_fmac_f16_e32 v100, v17, v36
	v_fma_f16 v101, v16, v36, -v101
	v_fmac_f16_e32 v102, v63, v37
	v_mul_f16_e32 v16, v79, v97
	v_mul_f16_e32 v63, v61, v97
	v_fmac_f16_e32 v104, v35, v38
	v_fmac_f16_e32 v106, v67, v39
	v_lshrrev_b32_e32 v89, 16, v41
	v_lshrrev_b32_e32 v90, 16, v42
	;; [unrolled: 1-line block ×7, first 2 shown]
	v_mul_f16_e32 v107, v67, v87
	v_mul_f16_e32 v86, v53, v86
	;; [unrolled: 1-line block ×6, first 2 shown]
	v_fma_f16 v80, v80, v37, -v103
	v_fma_f16 v78, v78, v38, -v105
	v_fmac_f16_e32 v108, v59, v36
	v_fma_f16 v59, v19, v36, -v109
	v_fmac_f16_e32 v111, v53, v38
	v_fmac_f16_e32 v117, v33, v44
	v_fma_f16 v53, v60, v44, -v92
	v_fmac_f16_e32 v16, v61, v49
	v_fma_f16 v33, v79, v49, -v63
	v_add_f16_e32 v36, v8, v100
	v_add_f16_e32 v44, v102, v104
	;; [unrolled: 1-line block ×3, first 2 shown]
	v_mul_f16_e32 v88, v32, v88
	v_mul_f16_e32 v114, v70, v89
	;; [unrolled: 1-line block ×14, first 2 shown]
	v_fma_f16 v67, v82, v39, -v107
	v_fmac_f16_e32 v113, v32, v40
	v_fmac_f16_e32 v116, v57, v43
	;; [unrolled: 1-line block ×3, first 2 shown]
	v_fma_f16 v32, v81, v48, -v96
	v_sub_f16_e32 v48, v80, v78
	v_add_f16_e32 v57, v80, v78
	v_add_f16_e32 v64, v36, v102
	v_fma_f16 v36, -0.5, v44, v8
	v_fmac_f16_e32 v8, -0.5, v49
	v_mul_f16_e32 v110, v65, v85
	v_mul_f16_e32 v85, v62, v85
	;; [unrolled: 1-line block ×4, first 2 shown]
	v_fma_f16 v40, v56, v40, -v88
	v_fmac_f16_e32 v114, v34, v41
	v_fmac_f16_e32 v115, v54, v42
	;; [unrolled: 1-line block ×3, first 2 shown]
	v_fma_f16 v52, v71, v45, -v93
	v_fmac_f16_e32 v119, v55, v46
	v_fma_f16 v54, v74, v46, -v94
	v_fmac_f16_e32 v120, v58, v47
	;; [unrolled: 2-line block ×4, first 2 shown]
	v_fma_f16 v19, v84, v51, -v98
	v_sub_f16_e32 v47, v101, v67
	v_sub_f16_e32 v45, v100, v102
	;; [unrolled: 1-line block ×5, first 2 shown]
	v_add_f16_e32 v56, v11, v101
	v_fma_f16 v44, -0.5, v57, v11
	v_fmamk_f16 v57, v48, 0x3b9c, v8
	v_fmac_f16_e32 v8, 0xbb9c, v48
	v_fmac_f16_e32 v110, v62, v37
	v_fma_f16 v37, v65, v37, -v85
	v_sub_f16_e32 v61, v101, v80
	v_sub_f16_e32 v62, v67, v78
	v_add_f16_e32 v65, v45, v46
	v_add_f16_e32 v49, v50, v51
	;; [unrolled: 1-line block ×3, first 2 shown]
	v_fmamk_f16 v56, v47, 0xbb9c, v36
	v_fmac_f16_e32 v36, 0x3b9c, v47
	v_fmac_f16_e32 v57, 0xb8b4, v47
	;; [unrolled: 1-line block ×3, first 2 shown]
	v_mul_f16_e32 v112, v75, v87
	v_mul_f16_e32 v87, v66, v87
	v_sub_f16_e32 v58, v100, v106
	v_add_f16_e32 v63, v101, v67
	v_add_f16_e32 v50, v61, v62
	;; [unrolled: 1-line block ×3, first 2 shown]
	v_fmac_f16_e32 v56, 0xb8b4, v48
	v_fmac_f16_e32 v36, 0x38b4, v48
	;; [unrolled: 1-line block ×4, first 2 shown]
	v_sub_f16_e32 v48, v80, v101
	v_sub_f16_e32 v49, v78, v67
	v_fmac_f16_e32 v112, v66, v39
	v_fma_f16 v39, v75, v39, -v87
	v_sub_f16_e32 v60, v102, v104
	v_fmac_f16_e32 v11, -0.5, v63
	v_fmamk_f16 v45, v58, 0x3b9c, v44
	v_fmac_f16_e32 v44, 0xbb9c, v58
	v_add_f16_e32 v47, v61, v67
	v_add_f16_e32 v61, v110, v111
	;; [unrolled: 1-line block ×4, first 2 shown]
	v_fma_f16 v38, v72, v38, -v86
	v_fmamk_f16 v46, v60, 0xbb9c, v11
	v_fmac_f16_e32 v45, 0x38b4, v60
	v_fmac_f16_e32 v56, 0x34f2, v65
	;; [unrolled: 1-line block ×4, first 2 shown]
	v_fma_f16 v61, -0.5, v61, v6
	v_sub_f16_e32 v62, v59, v39
	v_fmac_f16_e32 v11, 0x3b9c, v60
	v_add_f16_e32 v49, v49, v110
	v_add_f16_e32 v65, v108, v112
	;; [unrolled: 1-line block ×3, first 2 shown]
	v_fmac_f16_e32 v45, 0x34f2, v50
	v_fmac_f16_e32 v46, 0x38b4, v58
	;; [unrolled: 1-line block ×3, first 2 shown]
	v_fmamk_f16 v50, v62, 0xbb9c, v61
	v_sub_f16_e32 v60, v37, v38
	v_sub_f16_e32 v63, v108, v110
	v_sub_f16_e32 v64, v112, v111
	v_fmac_f16_e32 v11, 0xb8b4, v58
	v_add_f16_e32 v49, v49, v111
	v_fmac_f16_e32 v6, -0.5, v65
	v_fmac_f16_e32 v61, 0x3b9c, v62
	v_add_f16_e32 v65, v10, v59
	v_fmac_f16_e32 v46, 0x34f2, v48
	v_fmac_f16_e32 v50, 0xb8b4, v60
	v_add_f16_e32 v58, v63, v64
	v_fmac_f16_e32 v11, 0x34f2, v48
	v_add_f16_e32 v48, v49, v112
	v_fmamk_f16 v49, v60, 0x3b9c, v6
	v_sub_f16_e32 v63, v110, v108
	v_sub_f16_e32 v64, v111, v112
	v_fmac_f16_e32 v61, 0x38b4, v60
	v_add_f16_e32 v66, v37, v38
	v_fmac_f16_e32 v6, 0xbb9c, v60
	v_add_f16_e32 v60, v65, v37
	v_fmac_f16_e32 v50, 0x34f2, v58
	v_fmac_f16_e32 v49, 0xb8b4, v62
	v_add_f16_e32 v63, v63, v64
	v_fma_f16 v64, -0.5, v66, v10
	v_sub_f16_e32 v65, v108, v112
	v_fmac_f16_e32 v61, 0x34f2, v58
	v_fmac_f16_e32 v6, 0x38b4, v62
	v_add_f16_e32 v58, v60, v38
	v_add_f16_e32 v62, v59, v39
	v_sub_f16_e32 v67, v59, v37
	v_sub_f16_e32 v68, v39, v38
	;; [unrolled: 1-line block ×4, first 2 shown]
	v_fma_f16 v43, v76, v43, -v91
	v_fmamk_f16 v60, v65, 0x3b9c, v64
	v_sub_f16_e32 v66, v110, v111
	v_fmac_f16_e32 v10, -0.5, v62
	v_add_f16_e32 v58, v58, v39
	v_fmac_f16_e32 v64, 0xbb9c, v65
	v_add_f16_e32 v39, v114, v115
	v_add_f16_e32 v37, v37, v38
	;; [unrolled: 1-line block ×3, first 2 shown]
	v_fma_f16 v41, v70, v41, -v89
	v_fma_f16 v42, v73, v42, -v90
	v_fmac_f16_e32 v49, 0x34f2, v63
	v_fmac_f16_e32 v6, 0x34f2, v63
	;; [unrolled: 1-line block ×3, first 2 shown]
	v_add_f16_e32 v62, v67, v68
	v_fmamk_f16 v63, v66, 0xbb9c, v10
	v_fmac_f16_e32 v64, 0xb8b4, v66
	v_fma_f16 v39, -0.5, v39, v5
	v_sub_f16_e32 v59, v40, v43
	v_fmac_f16_e32 v10, 0x3b9c, v66
	v_add_f16_e32 v38, v38, v114
	v_add_f16_e32 v69, v113, v116
	v_fmac_f16_e32 v60, 0x34f2, v62
	v_fmac_f16_e32 v63, 0x38b4, v65
	;; [unrolled: 1-line block ×3, first 2 shown]
	v_fmamk_f16 v62, v59, 0xbb9c, v39
	v_sub_f16_e32 v66, v41, v42
	v_sub_f16_e32 v67, v113, v114
	;; [unrolled: 1-line block ×3, first 2 shown]
	v_fmac_f16_e32 v10, 0xb8b4, v65
	v_add_f16_e32 v38, v38, v115
	v_fmac_f16_e32 v5, -0.5, v69
	v_fmac_f16_e32 v39, 0x3b9c, v59
	v_add_f16_e32 v69, v9, v40
	v_fmac_f16_e32 v63, 0x34f2, v37
	v_fmac_f16_e32 v62, 0xb8b4, v66
	v_add_f16_e32 v65, v67, v68
	v_fmac_f16_e32 v10, 0x34f2, v37
	v_add_f16_e32 v37, v38, v116
	v_fmamk_f16 v38, v66, 0x3b9c, v5
	v_sub_f16_e32 v67, v114, v113
	v_sub_f16_e32 v68, v115, v116
	v_fmac_f16_e32 v39, 0x38b4, v66
	v_add_f16_e32 v70, v41, v42
	v_fmac_f16_e32 v5, 0xbb9c, v66
	v_add_f16_e32 v66, v69, v41
	v_fmac_f16_e32 v38, 0xb8b4, v59
	v_add_f16_e32 v67, v67, v68
	v_fma_f16 v68, -0.5, v70, v9
	v_sub_f16_e32 v69, v113, v116
	v_fmac_f16_e32 v5, 0x38b4, v59
	v_add_f16_e32 v59, v66, v42
	v_add_f16_e32 v66, v40, v43
	v_sub_f16_e32 v71, v40, v41
	v_sub_f16_e32 v40, v41, v40
	;; [unrolled: 1-line block ×3, first 2 shown]
	v_fmac_f16_e32 v62, 0x34f2, v65
	v_fmac_f16_e32 v39, 0x34f2, v65
	v_fmamk_f16 v65, v69, 0x3b9c, v68
	v_sub_f16_e32 v70, v114, v115
	v_sub_f16_e32 v72, v43, v42
	v_fmac_f16_e32 v9, -0.5, v66
	v_fmac_f16_e32 v68, 0xbb9c, v69
	v_add_f16_e32 v42, v118, v119
	v_add_f16_e32 v40, v40, v41
	;; [unrolled: 1-line block ×3, first 2 shown]
	v_fmac_f16_e32 v38, 0x34f2, v67
	v_fmac_f16_e32 v5, 0x34f2, v67
	v_add_f16_e32 v59, v59, v43
	v_fmac_f16_e32 v65, 0x38b4, v70
	v_add_f16_e32 v66, v71, v72
	v_fmamk_f16 v67, v70, 0xbb9c, v9
	v_fmac_f16_e32 v68, 0xb8b4, v70
	v_fma_f16 v42, -0.5, v42, v4
	v_sub_f16_e32 v43, v53, v55
	v_fmac_f16_e32 v9, 0x3b9c, v70
	v_add_f16_e32 v41, v41, v118
	v_add_f16_e32 v73, v117, v120
	v_fmac_f16_e32 v65, 0x34f2, v66
	v_fmac_f16_e32 v67, 0x38b4, v69
	v_fmac_f16_e32 v68, 0x34f2, v66
	v_fmamk_f16 v66, v43, 0xbb9c, v42
	v_sub_f16_e32 v70, v52, v54
	v_sub_f16_e32 v71, v117, v118
	;; [unrolled: 1-line block ×3, first 2 shown]
	v_fmac_f16_e32 v9, 0xb8b4, v69
	v_add_f16_e32 v41, v41, v119
	v_fmac_f16_e32 v4, -0.5, v73
	v_fmac_f16_e32 v42, 0x3b9c, v43
	v_add_f16_e32 v73, v0, v53
	v_fmac_f16_e32 v67, 0x34f2, v40
	v_fmac_f16_e32 v66, 0xb8b4, v70
	v_add_f16_e32 v69, v71, v72
	v_fmac_f16_e32 v9, 0x34f2, v40
	v_add_f16_e32 v40, v41, v120
	v_fmamk_f16 v41, v70, 0x3b9c, v4
	v_sub_f16_e32 v71, v118, v117
	v_sub_f16_e32 v72, v119, v120
	v_fmac_f16_e32 v42, 0x38b4, v70
	v_add_f16_e32 v74, v52, v54
	v_fmac_f16_e32 v4, 0xbb9c, v70
	v_add_f16_e32 v70, v73, v52
	;; [unrolled: 2-line block ×3, first 2 shown]
	v_fma_f16 v72, -0.5, v74, v0
	v_sub_f16_e32 v73, v117, v120
	v_fmac_f16_e32 v4, 0x38b4, v43
	v_add_f16_e32 v43, v70, v54
	v_add_f16_e32 v70, v53, v55
	v_fmac_f16_e32 v66, 0x34f2, v69
	v_fmac_f16_e32 v42, 0x34f2, v69
	v_fmamk_f16 v69, v73, 0x3b9c, v72
	v_sub_f16_e32 v74, v118, v119
	v_sub_f16_e32 v75, v53, v52
	;; [unrolled: 1-line block ×3, first 2 shown]
	v_fmac_f16_e32 v0, -0.5, v70
	v_fmac_f16_e32 v72, 0xbb9c, v73
	v_sub_f16_e32 v52, v52, v53
	v_sub_f16_e32 v53, v54, v55
	v_add_f16_e32 v54, v16, v17
	v_fmac_f16_e32 v41, 0x34f2, v71
	v_fmac_f16_e32 v4, 0x34f2, v71
	v_add_f16_e32 v70, v43, v55
	v_fmac_f16_e32 v69, 0x38b4, v74
	v_add_f16_e32 v43, v75, v76
	v_fmamk_f16 v71, v74, 0xbb9c, v0
	v_fmac_f16_e32 v72, 0xb8b4, v74
	v_add_f16_e32 v52, v52, v53
	v_fmac_f16_e32 v0, 0x3b9c, v74
	v_add_f16_e32 v53, v7, v18
	v_fma_f16 v54, -0.5, v54, v7
	v_sub_f16_e32 v55, v32, v19
	v_fmac_f16_e32 v69, 0x34f2, v43
	v_fmac_f16_e32 v71, 0x38b4, v73
	;; [unrolled: 1-line block ×4, first 2 shown]
	v_add_f16_e32 v43, v53, v16
	v_fmamk_f16 v53, v55, 0xbb9c, v54
	v_sub_f16_e32 v73, v33, v34
	v_sub_f16_e32 v74, v18, v16
	;; [unrolled: 1-line block ×3, first 2 shown]
	v_fmac_f16_e32 v54, 0x3b9c, v55
	v_add_f16_e32 v76, v18, v35
	v_add_f16_e32 v43, v43, v17
	v_fmac_f16_e32 v53, 0xb8b4, v73
	v_add_f16_e32 v74, v74, v75
	v_fmac_f16_e32 v54, 0x38b4, v73
	v_fmac_f16_e32 v7, -0.5, v76
	v_sub_f16_e32 v75, v16, v18
	v_sub_f16_e32 v76, v17, v35
	v_fmac_f16_e32 v71, 0x34f2, v52
	v_fmac_f16_e32 v0, 0x34f2, v52
	v_add_f16_e32 v43, v43, v35
	v_fmac_f16_e32 v53, 0x34f2, v74
	v_fmac_f16_e32 v54, 0x34f2, v74
	v_fmamk_f16 v52, v73, 0x3b9c, v7
	v_add_f16_e32 v74, v33, v34
	v_fmac_f16_e32 v7, 0xbb9c, v73
	v_add_f16_e32 v73, v12, v32
	v_sub_f16_e32 v18, v18, v35
	v_add_f16_e32 v35, v75, v76
	v_add_f16_e32 v75, v32, v19
	v_fma_f16 v74, -0.5, v74, v12
	v_fmac_f16_e32 v52, 0xb8b4, v55
	v_fmac_f16_e32 v7, 0x38b4, v55
	v_add_f16_e32 v55, v73, v33
	v_sub_f16_e32 v16, v16, v17
	v_fmac_f16_e32 v12, -0.5, v75
	v_add_f16_e32 v51, v51, v106
	v_fmamk_f16 v73, v18, 0x3b9c, v74
	v_fmac_f16_e32 v52, 0x34f2, v35
	v_fmac_f16_e32 v7, 0x34f2, v35
	v_add_f16_e32 v17, v55, v34
	v_sub_f16_e32 v35, v32, v33
	v_sub_f16_e32 v55, v19, v34
	v_fmac_f16_e32 v74, 0xbb9c, v18
	v_fmamk_f16 v75, v16, 0xbb9c, v12
	v_sub_f16_e32 v32, v33, v32
	v_sub_f16_e32 v33, v34, v19
	v_fmac_f16_e32 v12, 0x3b9c, v16
	v_fmac_f16_e32 v73, 0x38b4, v16
	v_add_f16_e32 v34, v35, v55
	v_fmac_f16_e32 v74, 0xb8b4, v16
	v_fmac_f16_e32 v75, 0x38b4, v18
	v_add_f16_e32 v16, v32, v33
	v_fmac_f16_e32 v12, 0xb8b4, v18
	ds_store_b16 v26, v51
	ds_store_b16 v26, v56 offset:130
	ds_store_b16 v26, v57 offset:260
	;; [unrolled: 1-line block ×7, first 2 shown]
	v_lshlrev_b32_e32 v8, 1, v14
	v_add3_u32 v48, 0, v15, v29
	v_add_f16_e32 v55, v17, v19
	v_fmac_f16_e32 v73, 0x34f2, v34
	v_fmac_f16_e32 v74, 0x34f2, v34
	;; [unrolled: 1-line block ×4, first 2 shown]
	ds_store_b16 v26, v6 offset:1040
	ds_store_b16 v26, v61 offset:1170
	v_add3_u32 v49, 0, v8, v29
	v_add3_u32 v50, 0, v13, v29
	ds_store_b16 v48, v37 offset:1300
	ds_store_b16 v48, v62 offset:1430
	;; [unrolled: 1-line block ×15, first 2 shown]
	global_wb scope:SCOPE_SE
	s_wait_dscnt 0x0
	s_barrier_signal -1
	s_barrier_wait -1
	global_inv scope:SCOPE_SE
	ds_load_u16 v8, v26 offset:910
	ds_load_u16 v5, v25
	ds_load_u16 v4, v26 offset:130
	ds_load_u16 v13, v26 offset:260
	;; [unrolled: 1-line block ×23, first 2 shown]
	global_wb scope:SCOPE_SE
	s_wait_dscnt 0x0
	s_barrier_signal -1
	s_barrier_wait -1
	global_inv scope:SCOPE_SE
	ds_store_b16 v26, v47
	ds_store_b16 v26, v45 offset:130
	ds_store_b16 v26, v46 offset:260
	;; [unrolled: 1-line block ×24, first 2 shown]
	global_wb scope:SCOPE_SE
	s_wait_dscnt 0x0
	s_barrier_signal -1
	s_barrier_wait -1
	global_inv scope:SCOPE_SE
	s_and_saveexec_b32 s0, vcc_lo
	s_cbranch_execz .LBB0_21
; %bb.20:
	v_lshlrev_b32_e32 v0, 2, v31
	v_lshlrev_b64_e32 v[20:21], 2, v[20:21]
	global_load_b128 v[44:47], v[2:3], off offset:1248
	v_lshlrev_b64_e32 v[9:10], 2, v[0:1]
	v_lshlrev_b32_e32 v0, 2, v30
	s_delay_alu instid0(VALU_DEP_2) | instskip(NEXT) | instid1(VALU_DEP_2)
	v_add_co_u32 v9, vcc_lo, s8, v9
	v_lshlrev_b64_e32 v[30:31], 2, v[0:1]
	s_wait_alu 0xfffd
	s_delay_alu instid0(VALU_DEP_4)
	v_add_co_ci_u32_e32 v10, vcc_lo, s9, v10, vcc_lo
	v_lshlrev_b32_e32 v0, 2, v28
	global_load_b128 v[9:12], v[9:10], off offset:1248
	v_add_co_u32 v2, vcc_lo, s8, v30
	s_wait_alu 0xfffd
	v_add_co_ci_u32_e32 v3, vcc_lo, s9, v31, vcc_lo
	global_load_b128 v[48:51], v[2:3], off offset:1248
	v_lshlrev_b64_e32 v[2:3], 2, v[0:1]
	v_lshlrev_b32_e32 v0, 2, v27
	s_delay_alu instid0(VALU_DEP_1) | instskip(NEXT) | instid1(VALU_DEP_3)
	v_lshlrev_b64_e32 v[0:1], 2, v[0:1]
	v_add_co_u32 v2, vcc_lo, s8, v2
	s_wait_alu 0xfffd
	s_delay_alu instid0(VALU_DEP_4) | instskip(NEXT) | instid1(VALU_DEP_3)
	v_add_co_ci_u32_e32 v3, vcc_lo, s9, v3, vcc_lo
	v_add_co_u32 v0, vcc_lo, s8, v0
	global_load_b128 v[52:55], v[2:3], off offset:1248
	s_wait_alu 0xfffd
	v_add_co_ci_u32_e32 v1, vcc_lo, s9, v1, vcc_lo
	global_load_b128 v[56:59], v[0:1], off offset:1248
	v_mul_lo_u32 v2, s3, v22
	v_mul_lo_u32 v3, s2, v23
	v_mad_co_u64_u32 v[0:1], null, s2, v22, 0
	ds_load_u16 v22, v26 offset:3120
	ds_load_u16 v23, v26 offset:1950
	;; [unrolled: 1-line block ×24, first 2 shown]
	ds_load_u16 v77, v25
	v_add3_u32 v1, v1, v3, v2
	s_delay_alu instid0(VALU_DEP_1)
	v_lshlrev_b64_e32 v[0:1], 2, v[0:1]
	s_wait_loadcnt 0x4
	v_lshrrev_b32_e32 v79, 16, v44
	v_lshrrev_b32_e32 v80, 16, v45
	;; [unrolled: 1-line block ×4, first 2 shown]
	s_delay_alu instid0(VALU_DEP_4) | instskip(NEXT) | instid1(VALU_DEP_4)
	v_mul_f16_e32 v91, v37, v79
	v_mul_f16_e32 v92, v38, v80
	s_delay_alu instid0(VALU_DEP_4) | instskip(NEXT) | instid1(VALU_DEP_4)
	v_mul_f16_e32 v94, v36, v81
	v_mul_f16_e32 v93, v39, v82
	s_wait_dscnt 0x5
	v_mul_f16_e32 v79, v73, v79
	v_mul_f16_e32 v82, v66, v82
	;; [unrolled: 1-line block ×4, first 2 shown]
	v_fma_f16 v73, v73, v44, -v91
	v_fma_f16 v60, v60, v45, -v92
	;; [unrolled: 1-line block ×3, first 2 shown]
	v_fmac_f16_e32 v79, v37, v44
	s_wait_loadcnt 0x3
	v_lshrrev_b32_e32 v2, 16, v9
	v_lshrrev_b32_e32 v3, 16, v10
	;; [unrolled: 1-line block ×4, first 2 shown]
	v_fmac_f16_e32 v82, v39, v47
	v_mul_f16_e32 v84, v41, v2
	v_mul_f16_e32 v83, v40, v3
	;; [unrolled: 1-line block ×8, first 2 shown]
	s_wait_loadcnt 0x2
	v_lshrrev_b32_e32 v3, 16, v48
	v_lshrrev_b32_e32 v88, 16, v49
	;; [unrolled: 1-line block ×4, first 2 shown]
	v_fma_f16 v27, v27, v10, -v83
	v_fma_f16 v61, v61, v9, -v84
	;; [unrolled: 1-line block ×4, first 2 shown]
	v_fmac_f16_e32 v87, v40, v10
	v_fmac_f16_e32 v25, v43, v11
	;; [unrolled: 1-line block ×4, first 2 shown]
	v_mul_f16_e32 v9, v6, v3
	v_mul_f16_e32 v10, v33, v88
	;; [unrolled: 1-line block ×8, first 2 shown]
	s_wait_loadcnt 0x1
	v_lshrrev_b32_e32 v3, 16, v52
	v_lshrrev_b32_e32 v43, 16, v53
	;; [unrolled: 1-line block ×4, first 2 shown]
	v_fma_f16 v86, v23, v46, -v94
	v_fmac_f16_e32 v80, v38, v45
	v_fmac_f16_e32 v81, v36, v46
	v_sub_f16_e32 v23, v27, v61
	v_sub_f16_e32 v36, v67, v83
	v_add_f16_e32 v38, v61, v83
	v_sub_f16_e32 v44, v61, v27
	v_sub_f16_e32 v45, v83, v67
	v_add_f16_e32 v46, v27, v67
	s_wait_dscnt 0x4
	v_add_f16_e32 v47, v61, v74
	v_sub_f16_e32 v88, v87, v2
	v_sub_f16_e32 v89, v25, v78
	v_add_f16_e32 v90, v2, v78
	v_sub_f16_e32 v92, v2, v87
	v_sub_f16_e32 v93, v78, v25
	v_add_f16_e32 v94, v87, v25
	v_add_f16_e32 v95, v7, v2
	v_fma_f16 v9, v62, v48, -v9
	v_fma_f16 v28, v28, v49, -v10
	;; [unrolled: 1-line block ×4, first 2 shown]
	v_fmac_f16_e32 v22, v6, v48
	v_fmac_f16_e32 v40, v35, v51
	;; [unrolled: 1-line block ×4, first 2 shown]
	v_mul_f16_e32 v10, v8, v3
	v_mul_f16_e32 v11, v19, v43
	;; [unrolled: 1-line block ×8, first 2 shown]
	s_wait_loadcnt 0x0
	v_lshrrev_b32_e32 v49, 16, v56
	v_lshrrev_b32_e32 v50, 16, v57
	;; [unrolled: 1-line block ×3, first 2 shown]
	v_sub_f16_e32 v37, v87, v25
	v_sub_f16_e32 v39, v2, v78
	;; [unrolled: 1-line block ×4, first 2 shown]
	v_lshrrev_b32_e32 v68, 16, v59
	v_add_f16_e32 v36, v23, v36
	v_fma_f16 v2, -0.5, v38, v74
	v_add_f16_e32 v38, v44, v45
	v_fma_f16 v6, -0.5, v46, v74
	v_add_f16_e32 v23, v27, v47
	v_add_f16_e32 v27, v88, v89
	v_fma_f16 v3, -0.5, v90, v7
	v_add_f16_e32 v44, v92, v93
	v_fma_f16 v7, -0.5, v94, v7
	v_add_f16_e32 v45, v87, v95
	v_sub_f16_e32 v46, v9, v28
	v_sub_f16_e32 v47, v62, v63
	v_add_f16_e32 v74, v28, v63
	v_sub_f16_e32 v89, v22, v41
	v_sub_f16_e32 v90, v40, v42
	;; [unrolled: 3-line block ×3, first 2 shown]
	v_sub_f16_e32 v100, v41, v22
	v_sub_f16_e32 v101, v42, v40
	s_wait_dscnt 0x3
	v_add_f16_e32 v103, v9, v75
	v_fma_f16 v71, v71, v52, -v10
	v_fma_f16 v105, v30, v53, -v11
	;; [unrolled: 1-line block ×4, first 2 shown]
	v_fmac_f16_e32 v34, v8, v52
	v_fmac_f16_e32 v48, v32, v55
	;; [unrolled: 1-line block ×4, first 2 shown]
	v_mul_f16_e32 v12, v15, v49
	v_mul_f16_e32 v29, v16, v50
	;; [unrolled: 1-line block ×5, first 2 shown]
	v_sub_f16_e32 v87, v22, v40
	v_sub_f16_e32 v93, v9, v62
	;; [unrolled: 1-line block ×3, first 2 shown]
	v_add_f16_e32 v99, v9, v62
	v_add_f16_e32 v102, v22, v40
	;; [unrolled: 1-line block ×3, first 2 shown]
	v_mul_f16_e32 v30, v17, v68
	v_mul_f16_e32 v49, v72, v49
	;; [unrolled: 1-line block ×3, first 2 shown]
	v_fmamk_f16 v9, v37, 0x3b9c, v2
	v_fmac_f16_e32 v2, 0xbb9c, v37
	v_fmamk_f16 v8, v39, 0xbb9c, v6
	v_fmac_f16_e32 v6, 0x3b9c, v39
	v_add_f16_e32 v33, v67, v23
	v_fmamk_f16 v10, v61, 0x3b9c, v7
	v_fmac_f16_e32 v7, 0xbb9c, v61
	v_add_f16_e32 v25, v45, v25
	v_add_f16_e32 v45, v46, v47
	v_fma_f16 v22, -0.5, v74, v75
	v_add_f16_e32 v46, v89, v90
	v_fma_f16 v23, -0.5, v92, v18
	v_add_f16_e32 v47, v95, v98
	v_add_f16_e32 v54, v100, v101
	;; [unrolled: 1-line block ×3, first 2 shown]
	v_sub_f16_e32 v55, v71, v105
	v_sub_f16_e32 v67, v64, v69
	;; [unrolled: 1-line block ×6, first 2 shown]
	v_add_f16_e32 v100, v71, v64
	v_sub_f16_e32 v101, v35, v34
	v_add_f16_e32 v103, v34, v48
	s_wait_dscnt 0x2
	v_add_f16_e32 v71, v71, v76
	v_add_f16_e32 v34, v13, v34
	v_fma_f16 v72, v72, v56, -v12
	v_fmac_f16_e32 v50, v16, v57
	v_fmac_f16_e32 v51, v14, v58
	v_sub_f16_e32 v88, v41, v42
	v_fmamk_f16 v11, v91, 0xbb9c, v3
	v_fmac_f16_e32 v3, 0x3b9c, v91
	v_fma_f16 v18, -0.5, v102, v18
	v_add_f16_e32 v41, v104, v41
	v_add_f16_e32 v68, v105, v69
	v_sub_f16_e32 v90, v48, v43
	v_add_f16_e32 v92, v35, v43
	v_fma_f16 v104, v31, v57, -v29
	v_fma_f16 v65, v65, v59, -v30
	v_fmac_f16_e32 v49, v15, v56
	v_fmac_f16_e32 v52, v17, v59
	;; [unrolled: 1-line block ×6, first 2 shown]
	v_add_f16_e32 v12, v83, v33
	v_fmac_f16_e32 v10, 0x38b4, v91
	v_fmac_f16_e32 v7, 0xb8b4, v91
	v_fmamk_f16 v16, v93, 0x3b9c, v23
	v_fmac_f16_e32 v23, 0xbb9c, v93
	v_add_f16_e32 v37, v55, v67
	v_add_f16_e32 v55, v105, v71
	;; [unrolled: 1-line block ×4, first 2 shown]
	s_wait_dscnt 0x1
	v_add_f16_e32 v83, v72, v26
	v_fma_f16 v70, v70, v58, -v32
	v_fmac_f16_e32 v11, 0x38b4, v61
	v_fmac_f16_e32 v3, 0xb8b4, v61
	v_add_f16_e32 v14, v25, v78
	v_fmamk_f16 v25, v94, 0xbb9c, v18
	v_fmac_f16_e32 v18, 0x3b9c, v94
	v_add_f16_e32 v29, v63, v28
	v_fma_f16 v32, -0.5, v68, v76
	v_add_f16_e32 v39, v89, v90
	v_fma_f16 v33, -0.5, v92, v13
	v_fma_f16 v28, -0.5, v100, v76
	v_sub_f16_e32 v61, v49, v52
	v_sub_f16_e32 v67, v49, v50
	v_sub_f16_e32 v76, v72, v65
	v_add_f16_e32 v89, v4, v49
	v_sub_f16_e32 v92, v50, v49
	v_add_f16_e32 v49, v49, v52
	v_fmac_f16_e32 v9, 0x34f2, v36
	v_fmac_f16_e32 v2, 0x34f2, v36
	v_fmac_f16_e32 v8, 0x34f2, v38
	v_fmac_f16_e32 v6, 0x34f2, v38
	v_fmac_f16_e32 v10, 0x34f2, v44
	v_fmac_f16_e32 v7, 0x34f2, v44
	v_fmac_f16_e32 v16, 0x38b4, v94
	v_fmac_f16_e32 v23, 0xb8b4, v94
	v_add_f16_e32 v36, v69, v55
	v_add_f16_e32 v38, v56, v43
	v_fma_f16 v56, -0.5, v71, v4
	v_add_f16_e32 v44, v104, v83
	v_fma_f16 v19, -0.5, v99, v75
	v_sub_f16_e32 v75, v35, v43
	v_fma_f16 v30, -0.5, v103, v13
	v_sub_f16_e32 v68, v52, v51
	v_sub_f16_e32 v78, v104, v70
	v_fmac_f16_e32 v25, 0x38b4, v93
	v_fmac_f16_e32 v18, 0xb8b4, v93
	v_add_f16_e32 v13, v62, v29
	v_fmamk_f16 v29, v74, 0xbb9c, v32
	v_fmac_f16_e32 v32, 0x3b9c, v74
	v_fmac_f16_e32 v4, -0.5, v49
	v_fmac_f16_e32 v16, 0x34f2, v46
	v_fmac_f16_e32 v23, 0x34f2, v46
	v_add_f16_e32 v46, v64, v36
	v_fmamk_f16 v49, v76, 0xbb9c, v56
	v_add_f16_e32 v36, v70, v44
	v_fmac_f16_e32 v56, 0x3b9c, v76
	v_fmamk_f16 v17, v88, 0x3b9c, v19
	v_fmac_f16_e32 v19, 0xbb9c, v88
	v_add_f16_e32 v63, v104, v70
	v_sub_f16_e32 v102, v43, v48
	v_sub_f16_e32 v57, v72, v104
	;; [unrolled: 1-line block ×3, first 2 shown]
	v_add_f16_e32 v72, v72, v65
	v_add_f16_e32 v43, v67, v68
	v_fmac_f16_e32 v25, 0x34f2, v54
	v_fmac_f16_e32 v18, 0x34f2, v54
	;; [unrolled: 1-line block ×5, first 2 shown]
	v_add_f16_e32 v54, v65, v36
	v_fmac_f16_e32 v56, 0x38b4, v78
	v_add_f16_e32 v36, v80, v81
	v_fmac_f16_e32 v17, 0xb8b4, v87
	v_fmac_f16_e32 v19, 0x38b4, v87
	v_fma_f16 v55, -0.5, v63, v26
	v_sub_f16_e32 v59, v50, v51
	v_add_f16_e32 v50, v89, v50
	v_fmac_f16_e32 v26, -0.5, v72
	v_fmac_f16_e32 v29, 0x34f2, v37
	v_fmac_f16_e32 v32, 0x34f2, v37
	;; [unrolled: 1-line block ×4, first 2 shown]
	v_fma_f16 v43, -0.5, v36, v5
	v_sub_f16_e32 v36, v79, v80
	v_sub_f16_e32 v37, v82, v81
	v_add_f16_e32 v31, v41, v42
	v_sub_f16_e32 v58, v65, v70
	v_fmac_f16_e32 v17, 0x34f2, v47
	v_fmac_f16_e32 v19, 0x34f2, v47
	v_add_f16_e32 v47, v48, v38
	v_fmamk_f16 v48, v61, 0x3b9c, v55
	v_fmac_f16_e32 v55, 0xbb9c, v61
	v_add_f16_e32 v38, v50, v51
	v_fmamk_f16 v50, v59, 0x3b9c, v26
	v_fmac_f16_e32 v26, 0xbb9c, v59
	v_add_f16_e32 v44, v36, v37
	v_add_f16_e32 v36, v79, v82
	v_fmamk_f16 v15, v87, 0xbb9c, v22
	v_fmac_f16_e32 v22, 0x3b9c, v87
	v_fmac_f16_e32 v11, 0x34f2, v27
	;; [unrolled: 1-line block ×3, first 2 shown]
	v_add_f16_e32 v27, v40, v31
	v_add_f16_e32 v40, v57, v58
	v_fmac_f16_e32 v48, 0x38b4, v59
	v_fmac_f16_e32 v55, 0xb8b4, v59
	;; [unrolled: 1-line block ×4, first 2 shown]
	v_fma_f16 v61, -0.5, v36, v5
	v_mul_hi_u32 v36, 0xc9a633fd, v24
	v_sub_f16_e32 v99, v69, v64
	v_fmac_f16_e32 v15, 0xb8b4, v88
	v_fmac_f16_e32 v22, 0x38b4, v88
	v_fmac_f16_e32 v48, 0x34f2, v40
	v_fmac_f16_e32 v55, 0x34f2, v40
	v_add_f16_e32 v40, v73, v66
	v_add_f16_e32 v96, v60, v86
	v_fmamk_f16 v34, v75, 0x3b9c, v28
	v_fmac_f16_e32 v28, 0xbb9c, v75
	v_add_f16_e32 v41, v98, v99
	v_sub_f16_e32 v98, v51, v52
	v_fmac_f16_e32 v15, 0x34f2, v45
	v_fmac_f16_e32 v22, 0x34f2, v45
	v_add_f16_e32 v52, v52, v38
	v_sub_f16_e32 v38, v80, v81
	s_wait_dscnt 0x0
	v_fma_f16 v45, -0.5, v40, v77
	v_lshrrev_b32_e32 v36, 8, v36
	v_fma_f16 v53, -0.5, v96, v77
	v_sub_f16_e32 v96, v105, v69
	v_sub_f16_e32 v91, v70, v65
	v_fmamk_f16 v31, v95, 0x3b9c, v33
	v_fmac_f16_e32 v33, 0xbb9c, v95
	v_fmac_f16_e32 v34, 0xb8b4, v74
	;; [unrolled: 1-line block ×3, first 2 shown]
	v_sub_f16_e32 v97, v79, v82
	v_sub_f16_e32 v37, v60, v73
	;; [unrolled: 1-line block ×3, first 2 shown]
	v_fmamk_f16 v59, v38, 0x3b9c, v45
	v_sub_f16_e32 v62, v80, v79
	v_sub_f16_e32 v63, v81, v82
	v_fmac_f16_e32 v45, 0xbb9c, v38
	v_mul_u32_u24_e32 v36, 0x145, v36
	v_add_f16_e32 v57, v90, v91
	v_fmac_f16_e32 v31, 0x38b4, v96
	v_fmac_f16_e32 v33, 0xb8b4, v96
	v_fmamk_f16 v51, v78, 0xbb9c, v4
	v_fmac_f16_e32 v4, 0x3b9c, v78
	v_fmac_f16_e32 v34, 0x34f2, v41
	;; [unrolled: 1-line block ×3, first 2 shown]
	v_sub_f16_e32 v41, v60, v86
	v_add_f16_e32 v37, v37, v40
	v_fmac_f16_e32 v59, 0xb8b4, v97
	v_add_f16_e32 v62, v62, v63
	v_fmac_f16_e32 v45, 0x38b4, v97
	v_sub_nc_u32_e32 v63, v24, v36
	v_add_f16_e32 v58, v92, v98
	v_fmac_f16_e32 v31, 0x34f2, v39
	v_fmac_f16_e32 v33, 0x34f2, v39
	v_fmac_f16_e32 v51, 0x38b4, v76
	v_fmac_f16_e32 v4, 0xb8b4, v76
	v_fmac_f16_e32 v50, 0x34f2, v57
	v_fmac_f16_e32 v26, 0x34f2, v57
	v_fmamk_f16 v57, v97, 0xbb9c, v53
	v_sub_f16_e32 v39, v73, v66
	v_fmamk_f16 v64, v41, 0xbb9c, v61
	v_fmac_f16_e32 v61, 0x3b9c, v41
	v_fmac_f16_e32 v53, 0x3b9c, v97
	v_add_f16_e32 v40, v73, v77
	v_add_f16_e32 v5, v5, v79
	v_fmac_f16_e32 v59, 0x34f2, v37
	v_fmac_f16_e32 v45, 0x34f2, v37
	v_mad_co_u64_u32 v[36:37], null, s16, v63, 0
	v_sub_f16_e32 v84, v73, v60
	v_fmac_f16_e32 v51, 0x34f2, v58
	v_fmac_f16_e32 v4, 0x34f2, v58
	;; [unrolled: 1-line block ×3, first 2 shown]
	v_fmamk_f16 v58, v39, 0x3b9c, v43
	v_fmac_f16_e32 v64, 0x38b4, v39
	v_fmac_f16_e32 v43, 0xbb9c, v39
	v_fmac_f16_e32 v61, 0xb8b4, v39
	v_add_f16_e32 v39, v60, v40
	v_fmac_f16_e32 v53, 0x38b4, v38
	v_add_f16_e32 v38, v5, v80
	v_add_nc_u32_e32 v60, 0x145, v63
	v_fmamk_f16 v35, v96, 0xbb9c, v30
	v_fmac_f16_e32 v30, 0x3b9c, v96
	v_add_f16_e32 v65, v86, v39
	v_mov_b32_e32 v5, v37
	v_add_f16_e32 v37, v38, v81
	v_mad_co_u64_u32 v[38:39], null, s16, v60, 0
	v_sub_f16_e32 v85, v66, v86
	v_add_f16_e32 v42, v101, v102
	v_fmac_f16_e32 v35, 0x38b4, v95
	v_fmac_f16_e32 v30, 0xb8b4, v95
	;; [unrolled: 1-line block ×4, first 2 shown]
	v_mad_co_u64_u32 v[40:41], null, s17, v63, v[5:6]
	v_fmac_f16_e32 v35, 0x34f2, v42
	v_fmac_f16_e32 v30, 0x34f2, v42
	v_add_f16_e32 v42, v84, v85
	v_mov_b32_e32 v5, v39
	v_fmac_f16_e32 v58, 0x34f2, v44
	v_fmac_f16_e32 v43, 0x34f2, v44
	v_add_nc_u32_e32 v44, 0x28a, v63
	v_fmac_f16_e32 v57, 0x34f2, v42
	v_fmac_f16_e32 v53, 0x34f2, v42
	v_add_f16_e32 v42, v82, v37
	v_mov_b32_e32 v37, v40
	v_mad_co_u64_u32 v[39:40], null, s17, v60, v[5:6]
	v_add_co_u32 v5, vcc_lo, s6, v0
	s_wait_alu 0xfffd
	v_add_co_ci_u32_e32 v40, vcc_lo, s7, v1, vcc_lo
	v_fmac_f16_e32 v64, 0x34f2, v62
	s_delay_alu instid0(VALU_DEP_3)
	v_add_co_u32 v60, vcc_lo, v5, v20
	v_fmac_f16_e32 v61, 0x34f2, v62
	s_wait_alu 0xfffd
	v_add_co_ci_u32_e32 v62, vcc_lo, v40, v21, vcc_lo
	v_mad_co_u64_u32 v[20:21], null, s16, v44, 0
	v_lshlrev_b64_e32 v[0:1], 2, v[36:37]
	v_add_f16_e32 v41, v66, v65
	v_add_nc_u32_e32 v67, 0x3cf, v63
	v_add_nc_u32_e32 v63, 0x514, v63
	v_lshlrev_b64_e32 v[36:37], 2, v[38:39]
	v_pack_b32_f16 v53, v43, v53
	v_mov_b32_e32 v5, v21
	v_add_co_u32 v0, vcc_lo, v60, v0
	v_pack_b32_f16 v66, v42, v41
	s_wait_alu 0xfffd
	v_add_co_ci_u32_e32 v1, vcc_lo, v62, v1, vcc_lo
	v_mad_co_u64_u32 v[40:41], null, s17, v44, v[5:6]
	v_mad_co_u64_u32 v[41:42], null, s16, v63, 0
	v_add_co_u32 v36, vcc_lo, v60, v36
	s_wait_alu 0xfffd
	v_add_co_ci_u32_e32 v37, vcc_lo, v62, v37, vcc_lo
	v_add_nc_u32_e32 v65, 0x41, v24
	s_clause 0x1
	global_store_b32 v[0:1], v66, off
	global_store_b32 v[36:37], v53, off
	v_mov_b32_e32 v0, v42
	v_pack_b32_f16 v52, v52, v54
	v_mul_hi_u32 v21, 0xc9a633fd, v65
	v_add_nc_u32_e32 v54, 0x82, v24
	v_pack_b32_f16 v26, v4, v26
	v_mad_co_u64_u32 v[0:1], null, s17, v63, v[0:1]
	v_pack_b32_f16 v13, v27, v13
	v_pack_b32_f16 v17, v25, v17
	;; [unrolled: 1-line block ×3, first 2 shown]
	v_lshrrev_b32_e32 v68, 8, v21
	v_mov_b32_e32 v21, v40
	v_pack_b32_f16 v8, v10, v8
	v_mov_b32_e32 v42, v0
	v_mad_co_u64_u32 v[38:39], null, s16, v67, 0
	s_delay_alu instid0(VALU_DEP_4) | instskip(NEXT) | instid1(VALU_DEP_3)
	v_lshlrev_b64_e32 v[20:21], 2, v[20:21]
	v_lshlrev_b64_e32 v[40:41], 2, v[41:42]
	v_pack_b32_f16 v42, v64, v59
	s_delay_alu instid0(VALU_DEP_4)
	v_mov_b32_e32 v5, v39
	v_mul_u32_u24_e32 v39, 0x145, v68
	v_add_co_u32 v20, vcc_lo, v60, v20
	s_wait_alu 0xfffd
	v_add_co_ci_u32_e32 v21, vcc_lo, v62, v21, vcc_lo
	v_mad_co_u64_u32 v[43:44], null, s17, v67, v[5:6]
	v_sub_nc_u32_e32 v5, v65, v39
	s_delay_alu instid0(VALU_DEP_1) | instskip(SKIP_1) | instid1(VALU_DEP_4)
	v_mad_u32_u24 v53, 0x659, v68, v5
	v_pack_b32_f16 v5, v61, v45
	v_mov_b32_e32 v39, v43
	s_delay_alu instid0(VALU_DEP_3) | instskip(SKIP_1) | instid1(VALU_DEP_3)
	v_mad_co_u64_u32 v[36:37], null, s16, v53, 0
	v_add_nc_u32_e32 v45, 0x145, v53
	v_lshlrev_b64_e32 v[38:39], 2, v[38:39]
	s_delay_alu instid0(VALU_DEP_2) | instskip(NEXT) | instid1(VALU_DEP_4)
	v_mad_co_u64_u32 v[43:44], null, s16, v45, 0
	v_mov_b32_e32 v0, v37
	s_delay_alu instid0(VALU_DEP_3) | instskip(SKIP_1) | instid1(VALU_DEP_4)
	v_add_co_u32 v38, vcc_lo, v60, v38
	s_wait_alu 0xfffd
	v_add_co_ci_u32_e32 v39, vcc_lo, v62, v39, vcc_lo
	s_delay_alu instid0(VALU_DEP_3) | instskip(SKIP_4) | instid1(VALU_DEP_3)
	v_mad_co_u64_u32 v[0:1], null, s17, v53, v[0:1]
	v_mov_b32_e32 v1, v44
	v_add_co_u32 v40, vcc_lo, v60, v40
	s_wait_alu 0xfffd
	v_add_co_ci_u32_e32 v41, vcc_lo, v62, v41, vcc_lo
	v_mad_co_u64_u32 v[44:45], null, s17, v45, v[1:2]
	v_pack_b32_f16 v45, v58, v57
	s_clause 0x1
	global_store_b32 v[20:21], v5, off
	global_store_b32 v[38:39], v42, off
	v_dual_mov_b32 v37, v0 :: v_dual_add_nc_u32 v42, 0x28a, v53
	global_store_b32 v[40:41], v45, off
	v_add_nc_u32_e32 v45, 0x3cf, v53
	v_mad_co_u64_u32 v[20:21], null, s16, v42, 0
	v_lshlrev_b64_e32 v[0:1], 2, v[36:37]
	v_add_nc_u32_e32 v53, 0x514, v53
	s_delay_alu instid0(VALU_DEP_4)
	v_mad_co_u64_u32 v[38:39], null, s16, v45, 0
	v_lshlrev_b64_e32 v[36:37], 2, v[43:44]
	v_mov_b32_e32 v5, v21
	v_mul_hi_u32 v21, 0xc9a633fd, v54
	v_add_co_u32 v0, vcc_lo, v60, v0
	s_wait_alu 0xfffd
	v_add_co_ci_u32_e32 v1, vcc_lo, v62, v1, vcc_lo
	v_mad_co_u64_u32 v[40:41], null, s17, v42, v[5:6]
	v_mov_b32_e32 v5, v39
	v_mad_co_u64_u32 v[41:42], null, s16, v53, 0
	v_add_co_u32 v36, vcc_lo, v60, v36
	s_wait_alu 0xfffd
	v_add_co_ci_u32_e32 v37, vcc_lo, v62, v37, vcc_lo
	v_pack_b32_f16 v39, v49, v48
	v_mad_co_u64_u32 v[43:44], null, s17, v45, v[5:6]
	v_lshrrev_b32_e32 v5, 8, v21
	s_clause 0x1
	global_store_b32 v[0:1], v52, off
	global_store_b32 v[36:37], v39, off
	v_mov_b32_e32 v0, v42
	v_pack_b32_f16 v48, v51, v50
	v_mul_u32_u24_e32 v36, 0x145, v5
	v_mov_b32_e32 v39, v43
	s_delay_alu instid0(VALU_DEP_4) | instskip(NEXT) | instid1(VALU_DEP_3)
	v_mad_co_u64_u32 v[0:1], null, s17, v53, v[0:1]
	v_sub_nc_u32_e32 v1, v54, v36
	s_delay_alu instid0(VALU_DEP_3) | instskip(NEXT) | instid1(VALU_DEP_2)
	v_lshlrev_b64_e32 v[36:37], 2, v[38:39]
	v_mad_u32_u24 v45, 0x659, v5, v1
	s_delay_alu instid0(VALU_DEP_4) | instskip(NEXT) | instid1(VALU_DEP_2)
	v_dual_mov_b32 v21, v40 :: v_dual_mov_b32 v42, v0
	v_add_nc_u32_e32 v43, 0x145, v45
	s_delay_alu instid0(VALU_DEP_2) | instskip(SKIP_2) | instid1(VALU_DEP_4)
	v_lshlrev_b64_e32 v[20:21], 2, v[20:21]
	v_mad_co_u64_u32 v[0:1], null, s16, v45, 0
	v_add_nc_u32_e32 v49, 0x28a, v45
	v_mad_co_u64_u32 v[38:39], null, s16, v43, 0
	s_delay_alu instid0(VALU_DEP_4)
	v_add_co_u32 v20, vcc_lo, v60, v20
	s_wait_alu 0xfffd
	v_add_co_ci_u32_e32 v21, vcc_lo, v62, v21, vcc_lo
	v_add_co_u32 v4, vcc_lo, v60, v36
	s_wait_alu 0xfffd
	v_add_co_ci_u32_e32 v5, vcc_lo, v62, v37, vcc_lo
	v_lshlrev_b64_e32 v[36:37], 2, v[41:42]
	v_mad_co_u64_u32 v[40:41], null, s17, v45, v[1:2]
	v_mov_b32_e32 v1, v39
	global_store_b32 v[20:21], v26, off
	v_add_nc_u32_e32 v26, 0xc3, v24
	v_mad_co_u64_u32 v[41:42], null, s16, v49, 0
	v_mad_co_u64_u32 v[43:44], null, s17, v43, v[1:2]
	s_delay_alu instid0(VALU_DEP_3)
	v_mul_hi_u32 v20, 0xc9a633fd, v26
	v_add_co_u32 v36, vcc_lo, v60, v36
	s_wait_alu 0xfffd
	v_add_co_ci_u32_e32 v37, vcc_lo, v62, v37, vcc_lo
	v_pack_b32_f16 v39, v56, v55
	global_store_b32 v[4:5], v48, off
	v_dual_mov_b32 v4, v42 :: v_dual_mov_b32 v1, v40
	v_lshrrev_b32_e32 v40, 8, v20
	global_store_b32 v[36:37], v39, off
	v_dual_mov_b32 v39, v43 :: v_dual_add_nc_u32 v24, 0x104, v24
	v_mad_co_u64_u32 v[4:5], null, s17, v49, v[4:5]
	v_lshlrev_b64_e32 v[0:1], 2, v[0:1]
	s_delay_alu instid0(VALU_DEP_3)
	v_lshlrev_b64_e32 v[20:21], 2, v[38:39]
	v_mul_u32_u24_e32 v39, 0x145, v40
	v_add_nc_u32_e32 v38, 0x3cf, v45
	v_add_nc_u32_e32 v44, 0x514, v45
	v_pack_b32_f16 v43, v47, v46
	v_mov_b32_e32 v42, v4
	v_sub_nc_u32_e32 v26, v26, v39
	v_mad_co_u64_u32 v[4:5], null, s16, v38, 0
	v_mad_co_u64_u32 v[36:37], null, s16, v44, 0
	s_delay_alu instid0(VALU_DEP_3)
	v_mad_u32_u24 v46, 0x659, v40, v26
	v_add_co_u32 v0, vcc_lo, v60, v0
	s_wait_alu 0xfffd
	v_add_co_ci_u32_e32 v1, vcc_lo, v62, v1, vcc_lo
	v_mad_co_u64_u32 v[38:39], null, s17, v38, v[5:6]
	v_mad_co_u64_u32 v[39:40], null, s16, v46, 0
	v_add_co_u32 v20, vcc_lo, v60, v20
	s_wait_alu 0xfffd
	v_add_co_ci_u32_e32 v21, vcc_lo, v62, v21, vcc_lo
	v_pack_b32_f16 v45, v33, v32
	v_lshlrev_b64_e32 v[32:33], 2, v[41:42]
	v_mov_b32_e32 v5, v37
	s_clause 0x1
	global_store_b32 v[0:1], v43, off
	global_store_b32 v[20:21], v45, off
	v_mov_b32_e32 v0, v40
	v_pack_b32_f16 v26, v30, v28
	v_add_co_u32 v32, vcc_lo, v60, v32
	v_mad_co_u64_u32 v[41:42], null, s17, v44, v[5:6]
	s_wait_alu 0xfffd
	v_add_co_ci_u32_e32 v33, vcc_lo, v62, v33, vcc_lo
	v_mad_co_u64_u32 v[0:1], null, s17, v46, v[0:1]
	v_mov_b32_e32 v5, v38
	global_store_b32 v[32:33], v26, off
	v_dual_mov_b32 v37, v41 :: v_dual_add_nc_u32 v26, 0x145, v46
	v_pack_b32_f16 v38, v31, v29
	v_lshlrev_b64_e32 v[4:5], 2, v[4:5]
	v_mov_b32_e32 v40, v0
	s_delay_alu instid0(VALU_DEP_4) | instskip(SKIP_2) | instid1(VALU_DEP_4)
	v_mad_co_u64_u32 v[32:33], null, s16, v26, 0
	v_lshlrev_b64_e32 v[20:21], 2, v[36:37]
	v_add_nc_u32_e32 v37, 0x28a, v46
	v_lshlrev_b64_e32 v[28:29], 2, v[39:40]
	v_add_nc_u32_e32 v39, 0x3cf, v46
	v_add_co_u32 v4, vcc_lo, v60, v4
	s_delay_alu instid0(VALU_DEP_4)
	v_mad_co_u64_u32 v[30:31], null, s16, v37, 0
	s_wait_alu 0xfffd
	v_add_co_ci_u32_e32 v5, vcc_lo, v62, v5, vcc_lo
	v_pack_b32_f16 v36, v35, v34
	v_add_co_u32 v0, vcc_lo, v60, v20
	v_mov_b32_e32 v20, v33
	v_mad_co_u64_u32 v[34:35], null, s16, v39, 0
	s_wait_alu 0xfffd
	v_add_co_ci_u32_e32 v1, vcc_lo, v62, v21, vcc_lo
	v_add_co_u32 v28, vcc_lo, v60, v28
	v_mad_co_u64_u32 v[20:21], null, s17, v26, v[20:21]
	s_wait_alu 0xfffd
	v_add_co_ci_u32_e32 v29, vcc_lo, v62, v29, vcc_lo
	v_mov_b32_e32 v21, v31
	s_clause 0x2
	global_store_b32 v[4:5], v36, off
	global_store_b32 v[0:1], v38, off
	;; [unrolled: 1-line block ×3, first 2 shown]
	v_mov_b32_e32 v0, v35
	v_dual_mov_b32 v33, v20 :: v_dual_add_nc_u32 v28, 0x514, v46
	v_mad_co_u64_u32 v[26:27], null, s17, v37, v[21:22]
	s_delay_alu instid0(VALU_DEP_3)
	v_mad_co_u64_u32 v[0:1], null, s17, v39, v[0:1]
	v_mul_hi_u32 v1, 0xc9a633fd, v24
	v_pack_b32_f16 v22, v23, v22
	v_lshlrev_b64_e32 v[4:5], 2, v[32:33]
	v_pack_b32_f16 v29, v18, v19
	v_mov_b32_e32 v31, v26
	v_mad_co_u64_u32 v[26:27], null, s16, v28, 0
	v_mov_b32_e32 v35, v0
	v_lshrrev_b32_e32 v23, 8, v1
	s_delay_alu instid0(VALU_DEP_4)
	v_lshlrev_b64_e32 v[20:21], 2, v[30:31]
	v_add_co_u32 v4, vcc_lo, v60, v4
	s_wait_alu 0xfffd
	v_add_co_ci_u32_e32 v5, vcc_lo, v62, v5, vcc_lo
	v_mov_b32_e32 v13, v27
	v_mul_u32_u24_e32 v27, 0x145, v23
	v_add_co_u32 v0, vcc_lo, v60, v20
	s_wait_alu 0xfffd
	v_add_co_ci_u32_e32 v1, vcc_lo, v62, v21, vcc_lo
	v_mad_co_u64_u32 v[18:19], null, s17, v28, v[13:14]
	v_sub_nc_u32_e32 v13, v24, v27
	v_lshlrev_b64_e32 v[20:21], 2, v[34:35]
	s_delay_alu instid0(VALU_DEP_2) | instskip(NEXT) | instid1(VALU_DEP_4)
	v_mad_u32_u24 v24, 0x659, v23, v13
	v_mov_b32_e32 v27, v18
	s_delay_alu instid0(VALU_DEP_3) | instskip(SKIP_1) | instid1(VALU_DEP_4)
	v_add_co_u32 v19, vcc_lo, v60, v20
	s_wait_alu 0xfffd
	v_add_co_ci_u32_e32 v20, vcc_lo, v62, v21, vcc_lo
	v_add_nc_u32_e32 v23, 0x145, v24
	s_clause 0x2
	global_store_b32 v[4:5], v22, off
	global_store_b32 v[0:1], v29, off
	;; [unrolled: 1-line block ×3, first 2 shown]
	v_add_nc_u32_e32 v25, 0x28a, v24
	v_mad_co_u64_u32 v[4:5], null, s16, v24, 0
	v_mad_co_u64_u32 v[17:18], null, s16, v23, 0
	s_delay_alu instid0(VALU_DEP_3)
	v_mad_co_u64_u32 v[19:20], null, s16, v25, 0
	v_lshlrev_b64_e32 v[0:1], 2, v[26:27]
	v_add_nc_u32_e32 v26, 0x3cf, v24
	v_mad_co_u64_u32 v[21:22], null, s17, v24, v[5:6]
	v_mov_b32_e32 v13, v18
	v_pack_b32_f16 v18, v16, v15
	v_add_co_u32 v0, vcc_lo, v60, v0
	s_wait_alu 0xfffd
	v_add_co_ci_u32_e32 v1, vcc_lo, v62, v1, vcc_lo
	v_mad_co_u64_u32 v[15:16], null, s17, v23, v[13:14]
	v_mov_b32_e32 v13, v20
	v_mad_co_u64_u32 v[22:23], null, s16, v26, 0
	v_mov_b32_e32 v5, v21
	global_store_b32 v[0:1], v18, off
	v_mad_co_u64_u32 v[20:21], null, s17, v25, v[13:14]
	v_dual_mov_b32 v18, v15 :: v_dual_add_nc_u32 v21, 0x514, v24
	v_lshlrev_b64_e32 v[0:1], 2, v[4:5]
	v_mov_b32_e32 v4, v23
	v_pack_b32_f16 v14, v14, v12
	s_delay_alu instid0(VALU_DEP_4) | instskip(SKIP_1) | instid1(VALU_DEP_4)
	v_mad_co_u64_u32 v[15:16], null, s16, v21, 0
	v_lshlrev_b64_e32 v[12:13], 2, v[17:18]
	v_mad_co_u64_u32 v[4:5], null, s17, v26, v[4:5]
	v_lshlrev_b64_e32 v[17:18], 2, v[19:20]
	v_add_co_u32 v0, vcc_lo, v60, v0
	v_mov_b32_e32 v5, v16
	s_wait_alu 0xfffd
	v_add_co_ci_u32_e32 v1, vcc_lo, v62, v1, vcc_lo
	v_mov_b32_e32 v23, v4
	v_add_co_u32 v4, vcc_lo, v60, v12
	v_mad_co_u64_u32 v[19:20], null, s17, v21, v[5:6]
	v_pack_b32_f16 v20, v7, v6
	s_delay_alu instid0(VALU_DEP_4)
	v_lshlrev_b64_e32 v[6:7], 2, v[22:23]
	s_wait_alu 0xfffd
	v_add_co_ci_u32_e32 v5, vcc_lo, v62, v13, vcc_lo
	v_add_co_u32 v12, vcc_lo, v60, v17
	v_mov_b32_e32 v16, v19
	v_pack_b32_f16 v17, v3, v2
	s_wait_alu 0xfffd
	v_add_co_ci_u32_e32 v13, vcc_lo, v62, v18, vcc_lo
	v_add_co_u32 v6, vcc_lo, v60, v6
	v_lshlrev_b64_e32 v[2:3], 2, v[15:16]
	s_wait_alu 0xfffd
	v_add_co_ci_u32_e32 v7, vcc_lo, v62, v7, vcc_lo
	s_delay_alu instid0(VALU_DEP_2) | instskip(SKIP_1) | instid1(VALU_DEP_3)
	v_add_co_u32 v2, vcc_lo, v60, v2
	s_wait_alu 0xfffd
	v_add_co_ci_u32_e32 v3, vcc_lo, v62, v3, vcc_lo
	s_clause 0x4
	global_store_b32 v[0:1], v14, off
	global_store_b32 v[4:5], v20, off
	;; [unrolled: 1-line block ×5, first 2 shown]
.LBB0_21:
	s_nop 0
	s_sendmsg sendmsg(MSG_DEALLOC_VGPRS)
	s_endpgm
	.section	.rodata,"a",@progbits
	.p2align	6, 0x0
	.amdhsa_kernel fft_rtc_back_len1625_factors_13_5_5_5_wgs_130_tpt_65_halfLds_half_op_CI_CI_sbrr_dirReg
		.amdhsa_group_segment_fixed_size 0
		.amdhsa_private_segment_fixed_size 0
		.amdhsa_kernarg_size 104
		.amdhsa_user_sgpr_count 2
		.amdhsa_user_sgpr_dispatch_ptr 0
		.amdhsa_user_sgpr_queue_ptr 0
		.amdhsa_user_sgpr_kernarg_segment_ptr 1
		.amdhsa_user_sgpr_dispatch_id 0
		.amdhsa_user_sgpr_private_segment_size 0
		.amdhsa_wavefront_size32 1
		.amdhsa_uses_dynamic_stack 0
		.amdhsa_enable_private_segment 0
		.amdhsa_system_sgpr_workgroup_id_x 1
		.amdhsa_system_sgpr_workgroup_id_y 0
		.amdhsa_system_sgpr_workgroup_id_z 0
		.amdhsa_system_sgpr_workgroup_info 0
		.amdhsa_system_vgpr_workitem_id 0
		.amdhsa_next_free_vgpr 121
		.amdhsa_next_free_sgpr 43
		.amdhsa_reserve_vcc 1
		.amdhsa_float_round_mode_32 0
		.amdhsa_float_round_mode_16_64 0
		.amdhsa_float_denorm_mode_32 3
		.amdhsa_float_denorm_mode_16_64 3
		.amdhsa_fp16_overflow 0
		.amdhsa_workgroup_processor_mode 1
		.amdhsa_memory_ordered 1
		.amdhsa_forward_progress 0
		.amdhsa_round_robin_scheduling 0
		.amdhsa_exception_fp_ieee_invalid_op 0
		.amdhsa_exception_fp_denorm_src 0
		.amdhsa_exception_fp_ieee_div_zero 0
		.amdhsa_exception_fp_ieee_overflow 0
		.amdhsa_exception_fp_ieee_underflow 0
		.amdhsa_exception_fp_ieee_inexact 0
		.amdhsa_exception_int_div_zero 0
	.end_amdhsa_kernel
	.text
.Lfunc_end0:
	.size	fft_rtc_back_len1625_factors_13_5_5_5_wgs_130_tpt_65_halfLds_half_op_CI_CI_sbrr_dirReg, .Lfunc_end0-fft_rtc_back_len1625_factors_13_5_5_5_wgs_130_tpt_65_halfLds_half_op_CI_CI_sbrr_dirReg
                                        ; -- End function
	.section	.AMDGPU.csdata,"",@progbits
; Kernel info:
; codeLenInByte = 20056
; NumSgprs: 45
; NumVgprs: 121
; ScratchSize: 0
; MemoryBound: 0
; FloatMode: 240
; IeeeMode: 1
; LDSByteSize: 0 bytes/workgroup (compile time only)
; SGPRBlocks: 5
; VGPRBlocks: 15
; NumSGPRsForWavesPerEU: 45
; NumVGPRsForWavesPerEU: 121
; Occupancy: 10
; WaveLimiterHint : 1
; COMPUTE_PGM_RSRC2:SCRATCH_EN: 0
; COMPUTE_PGM_RSRC2:USER_SGPR: 2
; COMPUTE_PGM_RSRC2:TRAP_HANDLER: 0
; COMPUTE_PGM_RSRC2:TGID_X_EN: 1
; COMPUTE_PGM_RSRC2:TGID_Y_EN: 0
; COMPUTE_PGM_RSRC2:TGID_Z_EN: 0
; COMPUTE_PGM_RSRC2:TIDIG_COMP_CNT: 0
	.text
	.p2alignl 7, 3214868480
	.fill 96, 4, 3214868480
	.type	__hip_cuid_a2de44a8013b203c,@object ; @__hip_cuid_a2de44a8013b203c
	.section	.bss,"aw",@nobits
	.globl	__hip_cuid_a2de44a8013b203c
__hip_cuid_a2de44a8013b203c:
	.byte	0                               ; 0x0
	.size	__hip_cuid_a2de44a8013b203c, 1

	.ident	"AMD clang version 19.0.0git (https://github.com/RadeonOpenCompute/llvm-project roc-6.4.0 25133 c7fe45cf4b819c5991fe208aaa96edf142730f1d)"
	.section	".note.GNU-stack","",@progbits
	.addrsig
	.addrsig_sym __hip_cuid_a2de44a8013b203c
	.amdgpu_metadata
---
amdhsa.kernels:
  - .args:
      - .actual_access:  read_only
        .address_space:  global
        .offset:         0
        .size:           8
        .value_kind:     global_buffer
      - .offset:         8
        .size:           8
        .value_kind:     by_value
      - .actual_access:  read_only
        .address_space:  global
        .offset:         16
        .size:           8
        .value_kind:     global_buffer
      - .actual_access:  read_only
        .address_space:  global
        .offset:         24
        .size:           8
        .value_kind:     global_buffer
      - .actual_access:  read_only
        .address_space:  global
        .offset:         32
        .size:           8
        .value_kind:     global_buffer
      - .offset:         40
        .size:           8
        .value_kind:     by_value
      - .actual_access:  read_only
        .address_space:  global
        .offset:         48
        .size:           8
        .value_kind:     global_buffer
      - .actual_access:  read_only
        .address_space:  global
        .offset:         56
        .size:           8
        .value_kind:     global_buffer
      - .offset:         64
        .size:           4
        .value_kind:     by_value
      - .actual_access:  read_only
        .address_space:  global
        .offset:         72
        .size:           8
        .value_kind:     global_buffer
      - .actual_access:  read_only
        .address_space:  global
        .offset:         80
        .size:           8
        .value_kind:     global_buffer
      - .actual_access:  read_only
        .address_space:  global
        .offset:         88
        .size:           8
        .value_kind:     global_buffer
      - .actual_access:  write_only
        .address_space:  global
        .offset:         96
        .size:           8
        .value_kind:     global_buffer
    .group_segment_fixed_size: 0
    .kernarg_segment_align: 8
    .kernarg_segment_size: 104
    .language:       OpenCL C
    .language_version:
      - 2
      - 0
    .max_flat_workgroup_size: 130
    .name:           fft_rtc_back_len1625_factors_13_5_5_5_wgs_130_tpt_65_halfLds_half_op_CI_CI_sbrr_dirReg
    .private_segment_fixed_size: 0
    .sgpr_count:     45
    .sgpr_spill_count: 0
    .symbol:         fft_rtc_back_len1625_factors_13_5_5_5_wgs_130_tpt_65_halfLds_half_op_CI_CI_sbrr_dirReg.kd
    .uniform_work_group_size: 1
    .uses_dynamic_stack: false
    .vgpr_count:     121
    .vgpr_spill_count: 0
    .wavefront_size: 32
    .workgroup_processor_mode: 1
amdhsa.target:   amdgcn-amd-amdhsa--gfx1201
amdhsa.version:
  - 1
  - 2
...

	.end_amdgpu_metadata
